;; amdgpu-corpus repo=ROCm/rocFFT kind=compiled arch=gfx950 opt=O3
	.text
	.amdgcn_target "amdgcn-amd-amdhsa--gfx950"
	.amdhsa_code_object_version 6
	.protected	bluestein_single_fwd_len1600_dim1_dp_op_CI_CI ; -- Begin function bluestein_single_fwd_len1600_dim1_dp_op_CI_CI
	.globl	bluestein_single_fwd_len1600_dim1_dp_op_CI_CI
	.p2align	8
	.type	bluestein_single_fwd_len1600_dim1_dp_op_CI_CI,@function
bluestein_single_fwd_len1600_dim1_dp_op_CI_CI: ; @bluestein_single_fwd_len1600_dim1_dp_op_CI_CI
; %bb.0:
	s_load_dwordx4 s[4:7], s[0:1], 0x28
	v_mul_u32_u24_e32 v1, 0x290, v0
	v_lshrrev_b32_e32 v14, 16, v1
	v_mov_b32_e32 v3, 0
	v_lshl_add_u32 v254, s2, 1, v14
	v_mov_b32_e32 v255, v3
	s_waitcnt lgkmcnt(0)
	v_cmp_gt_u64_e32 vcc, s[4:5], v[254:255]
	s_and_saveexec_b64 s[2:3], vcc
	s_cbranch_execz .LBB0_23
; %bb.1:
	s_load_dwordx4 s[12:15], s[0:1], 0x18
	s_load_dwordx2 s[16:17], s[0:1], 0x0
	v_mul_lo_u16_e32 v1, 0x64, v14
	v_sub_u16_e32 v2, v0, v1
	v_mov_b32_e32 v4, s6
	s_waitcnt lgkmcnt(0)
	s_load_dwordx4 s[8:11], s[12:13], 0x0
	v_mov_b32_e32 v5, s7
	v_or_b32_e32 v15, 0x500, v2
	v_lshlrev_b32_e32 v29, 4, v15
	v_accvgpr_write_b32 a1, v15
	s_waitcnt lgkmcnt(0)
	v_mad_u64_u32 v[0:1], s[2:3], s10, v254, 0
	v_mov_b32_e32 v6, v1
	v_mad_u64_u32 v[6:7], s[2:3], s11, v254, v[6:7]
	v_mov_b32_e32 v1, v6
	;; [unrolled: 2-line block ×3, first 2 shown]
	v_mad_u64_u32 v[8:9], s[2:3], s9, v2, v[8:9]
	s_mul_i32 s2, s9, 0xa0
	s_mul_hi_u32 s3, s8, 0xa0
	v_mov_b32_e32 v7, v8
	v_lshl_add_u64 v[10:11], v[0:1], 4, v[4:5]
	v_lshlrev_b32_e32 v8, 4, v2
	v_mov_b32_e32 v9, v3
	s_add_i32 s3, s3, s2
	s_mul_i32 s2, s8, 0xa0
	v_lshl_add_u64 v[0:1], v[6:7], 4, v[10:11]
	v_lshl_add_u64 v[252:253], s[16:17], 0, v[8:9]
	s_lshl_b64 s[12:13], s[2:3], 4
	s_movk_i32 s2, 0x1000
	v_or_b32_e32 v9, 0x280, v2
	v_lshl_add_u64 v[4:5], v[0:1], 0, s[12:13]
	global_load_dwordx4 v[44:47], v[0:1], off
	global_load_dwordx4 v[40:43], v[4:5], off
	global_load_dwordx4 v[96:99], v8, s[16:17]
	global_load_dwordx4 v[72:75], v8, s[16:17] offset:2560
	v_add_co_u32_e32 v0, vcc, s2, v252
	v_mad_u64_u32 v[6:7], s[2:3], s8, v9, 0
	v_mov_b32_e32 v12, v7
	v_lshl_add_u64 v[4:5], v[4:5], 0, s[12:13]
	v_mad_u64_u32 v[12:13], s[2:3], s9, v9, v[12:13]
	global_load_dwordx4 v[48:51], v[4:5], off
	v_addc_co_u32_e32 v1, vcc, 0, v253, vcc
	v_lshl_add_u64 v[4:5], v[4:5], 0, s[12:13]
	v_mov_b32_e32 v7, v12
	v_accvgpr_write_b32 a0, v9
	v_lshlrev_b32_e32 v28, 4, v9
	v_mov_b32_e32 v9, 0x1400
	global_load_dwordx4 v[92:95], v[0:1], off offset:1024
	global_load_dwordx4 v[76:79], v[0:1], off offset:3584
	v_lshl_add_u64 v[6:7], v[6:7], 4, v[10:11]
	global_load_dwordx4 v[16:19], v[4:5], off
	global_load_dwordx4 v[20:23], v[6:7], off
	v_mad_u64_u32 v[4:5], s[2:3], s8, v9, v[4:5]
	s_mul_i32 s4, s9, 0x1400
	s_movk_i32 s2, 0x3000
	v_add_u32_e32 v5, s4, v5
	v_add_co_u32_e32 v6, vcc, s2, v252
	global_load_dwordx4 v[24:27], v[4:5], off
	s_nop 0
	v_addc_co_u32_e32 v7, vcc, 0, v253, vcc
	global_load_dwordx4 v[104:107], v28, s[16:17]
	global_load_dwordx4 v[88:91], v[6:7], off offset:512
	v_lshl_add_u64 v[4:5], v[4:5], 0, s[12:13]
	s_movk_i32 s2, 0x4000
	global_load_dwordx4 v[52:55], v[4:5], off
	global_load_dwordx4 v[34:37], v[6:7], off offset:3072
	v_lshl_add_u64 v[12:13], v[4:5], 0, s[12:13]
	v_add_co_u32_e32 v4, vcc, s2, v252
	v_mad_u64_u32 v[30:31], s[2:3], s8, v15, 0
	v_mov_b32_e32 v32, v31
	v_addc_co_u32_e32 v5, vcc, 0, v253, vcc
	v_mad_u64_u32 v[32:33], s[2:3], s9, v15, v[32:33]
	global_load_dwordx4 v[56:59], v[12:13], off
	global_load_dwordx4 v[84:87], v[4:5], off offset:1536
	global_load_dwordx4 v[80:83], v29, s[16:17]
	v_mov_b32_e32 v31, v32
	v_mad_u64_u32 v[12:13], s[2:3], s8, v9, v[12:13]
	v_lshl_add_u64 v[10:11], v[30:31], 4, v[10:11]
	s_movk_i32 s2, 0x5000
	global_load_dwordx4 v[60:63], v[10:11], off
	v_add_co_u32_e32 v10, vcc, s2, v252
	v_add_u32_e32 v13, s4, v13
	s_nop 0
	v_addc_co_u32_e32 v11, vcc, 0, v253, vcc
	global_load_dwordx4 v[64:67], v[12:13], off
	global_load_dwordx4 v[100:103], v[10:11], off offset:2560
	v_and_b32_e32 v9, 1, v14
	v_mov_b32_e32 v14, 0x6400
	v_cmp_eq_u32_e32 vcc, 1, v9
	s_load_dwordx2 s[10:11], s[0:1], 0x38
	s_load_dwordx4 s[4:7], s[14:15], 0x0
	v_cndmask_b32_e32 v31, 0, v14, vcc
	v_add_u32_e32 v30, v31, v8
	v_cmp_gt_u16_e32 vcc, 60, v2
	s_waitcnt vmcnt(17)
	v_mul_f64 v[8:9], v[44:45], v[98:99]
	v_fma_f64 v[70:71], v[46:47], v[96:97], -v[8:9]
	s_waitcnt vmcnt(16)
	v_mul_f64 v[8:9], v[40:41], v[74:75]
	v_mul_f64 v[68:69], v[46:47], v[98:99]
	v_fma_f64 v[46:47], v[42:43], v[72:73], -v[8:9]
	v_fmac_f64_e32 v[68:69], v[44:45], v[96:97]
	v_mul_f64 v[44:45], v[42:43], v[74:75]
	v_accvgpr_write_b32 a30, v96
	v_fmac_f64_e32 v[44:45], v[40:41], v[72:73]
	v_accvgpr_write_b32 a6, v72
	v_accvgpr_write_b32 a31, v97
	v_accvgpr_write_b32 a32, v98
	v_accvgpr_write_b32 a33, v99
	v_accvgpr_write_b32 a7, v73
	v_accvgpr_write_b32 a8, v74
	v_accvgpr_write_b32 a9, v75
	ds_write_b128 v30, v[68:71]
	s_waitcnt vmcnt(14)
	v_mul_f64 v[8:9], v[48:49], v[94:95]
	v_fma_f64 v[42:43], v[50:51], v[92:93], -v[8:9]
	s_waitcnt vmcnt(12)
	v_mul_f64 v[14:15], v[18:19], v[78:79]
	v_mul_f64 v[8:9], v[16:17], v[78:79]
	v_fmac_f64_e32 v[14:15], v[16:17], v[76:77]
	v_fma_f64 v[16:17], v[18:19], v[76:77], -v[8:9]
	ds_write_b128 v30, v[14:17] offset:7680
	v_mul_f64 v[40:41], v[50:51], v[94:95]
	v_accvgpr_write_b32 a26, v92
	v_accvgpr_write_b32 a10, v76
	v_fmac_f64_e32 v[40:41], v[48:49], v[92:93]
	v_accvgpr_write_b32 a27, v93
	v_accvgpr_write_b32 a28, v94
	s_waitcnt vmcnt(9)
	v_mul_f64 v[14:15], v[22:23], v[106:107]
	v_mul_f64 v[8:9], v[20:21], v[106:107]
	v_fmac_f64_e32 v[14:15], v[20:21], v[104:105]
	v_fma_f64 v[16:17], v[22:23], v[104:105], -v[8:9]
	ds_write_b128 v30, v[14:17] offset:10240
	s_waitcnt vmcnt(8)
	v_mul_f64 v[14:15], v[26:27], v[90:91]
	v_mul_f64 v[8:9], v[24:25], v[90:91]
	v_fmac_f64_e32 v[14:15], v[24:25], v[88:89]
	v_fma_f64 v[16:17], v[26:27], v[88:89], -v[8:9]
	ds_write_b128 v30, v[14:17] offset:12800
	;; [unrolled: 6-line block ×3, first 2 shown]
	v_accvgpr_write_b32 a38, v104
	s_waitcnt vmcnt(4)
	v_mul_f64 v[14:15], v[58:59], v[86:87]
	v_mul_f64 v[8:9], v[56:57], v[86:87]
	v_fmac_f64_e32 v[14:15], v[56:57], v[84:85]
	v_fma_f64 v[16:17], v[58:59], v[84:85], -v[8:9]
	ds_write_b128 v30, v[14:17] offset:17920
	v_accvgpr_write_b32 a22, v88
	v_accvgpr_write_b32 a2, v34
	s_waitcnt vmcnt(2)
	v_mul_f64 v[14:15], v[62:63], v[82:83]
	v_mul_f64 v[8:9], v[60:61], v[82:83]
	v_fmac_f64_e32 v[14:15], v[60:61], v[80:81]
	v_fma_f64 v[16:17], v[62:63], v[80:81], -v[8:9]
	v_accvgpr_write_b32 a18, v84
	v_accvgpr_write_b32 a14, v80
	ds_write_b128 v30, v[14:17] offset:20480
	s_waitcnt vmcnt(0)
	v_mul_f64 v[14:15], v[66:67], v[102:103]
	v_mul_f64 v[8:9], v[64:65], v[102:103]
	v_accvgpr_write_b32 a34, v100
	v_accvgpr_write_b32 a29, v95
	;; [unrolled: 1-line block ×20, first 2 shown]
	v_fmac_f64_e32 v[14:15], v[64:65], v[100:101]
	v_accvgpr_write_b32 a35, v101
	v_accvgpr_write_b32 a36, v102
	;; [unrolled: 1-line block ×3, first 2 shown]
	v_fma_f64 v[16:17], v[66:67], v[100:101], -v[8:9]
	ds_write_b128 v30, v[44:47] offset:2560
	ds_write_b128 v30, v[40:43] offset:5120
	;; [unrolled: 1-line block ×3, first 2 shown]
	s_and_saveexec_b64 s[14:15], vcc
	s_cbranch_execz .LBB0_3
; %bb.2:
	v_mov_b32_e32 v8, 0xffffac40
	v_mad_u64_u32 v[8:9], s[2:3], s8, v8, v[12:13]
	s_mul_i32 s2, s9, 0xffffac40
	s_sub_i32 s2, s2, s8
	v_add_u32_e32 v9, s2, v9
	global_load_dwordx4 v[12:15], v[8:9], off
	global_load_dwordx4 v[16:19], v[252:253], off offset:1600
	v_lshl_add_u64 v[8:9], v[8:9], 0, s[12:13]
	global_load_dwordx4 v[20:23], v[8:9], off
	global_load_dwordx4 v[24:27], v[0:1], off offset:64
	v_lshl_add_u64 v[8:9], v[8:9], 0, s[12:13]
	s_movk_i32 s2, 0x2000
	global_load_dwordx4 v[40:43], v[8:9], off
	global_load_dwordx4 v[44:47], v[0:1], off offset:2624
	v_lshl_add_u64 v[0:1], v[8:9], 0, s[12:13]
	v_add_co_u32_e64 v8, s[2:3], s2, v252
	global_load_dwordx4 v[48:51], v[0:1], off
	s_nop 0
	v_addc_co_u32_e64 v9, s[2:3], 0, v253, s[2:3]
	global_load_dwordx4 v[52:55], v[8:9], off offset:1088
	v_lshl_add_u64 v[0:1], v[0:1], 0, s[12:13]
	global_load_dwordx4 v[56:59], v[8:9], off offset:3648
	global_load_dwordx4 v[60:63], v[0:1], off
	global_load_dwordx4 v[64:67], v[6:7], off offset:2112
	v_lshl_add_u64 v[0:1], v[0:1], 0, s[12:13]
	global_load_dwordx4 v[6:9], v[0:1], off
	v_lshl_add_u64 v[0:1], v[0:1], 0, s[12:13]
	global_load_dwordx4 v[68:71], v[0:1], off
	global_load_dwordx4 v[72:75], v[4:5], off offset:576
	global_load_dwordx4 v[76:79], v[4:5], off offset:3136
	;; [unrolled: 1-line block ×3, first 2 shown]
	v_lshl_add_u64 v[0:1], v[0:1], 0, s[12:13]
	s_movk_i32 s2, 0x6000
	global_load_dwordx4 v[84:87], v[0:1], off
	v_lshl_add_u64 v[0:1], v[0:1], 0, s[12:13]
	v_add_co_u32_e64 v4, s[2:3], s2, v252
	global_load_dwordx4 v[88:91], v[0:1], off
	s_nop 0
	v_addc_co_u32_e64 v5, s[2:3], 0, v253, s[2:3]
	v_lshl_add_u64 v[0:1], v[0:1], 0, s[12:13]
	global_load_dwordx4 v[92:95], v[4:5], off offset:64
	global_load_dwordx4 v[96:99], v[0:1], off
	s_waitcnt vmcnt(18)
	v_mul_f64 v[10:11], v[14:15], v[18:19]
	v_mul_f64 v[0:1], v[12:13], v[18:19]
	v_fmac_f64_e32 v[10:11], v[12:13], v[16:17]
	v_fma_f64 v[12:13], v[14:15], v[16:17], -v[0:1]
	s_waitcnt vmcnt(16)
	v_mul_f64 v[0:1], v[20:21], v[26:27]
	v_mul_f64 v[14:15], v[22:23], v[26:27]
	v_fma_f64 v[16:17], v[22:23], v[24:25], -v[0:1]
	s_waitcnt vmcnt(14)
	v_mul_f64 v[0:1], v[40:41], v[46:47]
	ds_write_b128 v30, v[10:13] offset:1600
	v_fmac_f64_e32 v[14:15], v[20:21], v[24:25]
	v_mul_f64 v[10:11], v[42:43], v[46:47]
	v_fma_f64 v[12:13], v[42:43], v[44:45], -v[0:1]
	s_waitcnt vmcnt(12)
	v_mul_f64 v[0:1], v[48:49], v[54:55]
	ds_write_b128 v30, v[14:17] offset:4160
	v_fmac_f64_e32 v[10:11], v[40:41], v[44:45]
	v_fma_f64 v[16:17], v[50:51], v[52:53], -v[0:1]
	s_waitcnt vmcnt(10)
	v_mul_f64 v[0:1], v[60:61], v[58:59]
	ds_write_b128 v30, v[10:13] offset:6720
	v_mul_f64 v[10:11], v[62:63], v[58:59]
	v_fma_f64 v[12:13], v[62:63], v[56:57], -v[0:1]
	s_waitcnt vmcnt(8)
	v_mul_f64 v[4:5], v[8:9], v[66:67]
	v_mul_f64 v[0:1], v[6:7], v[66:67]
	v_fmac_f64_e32 v[10:11], v[60:61], v[56:57]
	v_fmac_f64_e32 v[4:5], v[6:7], v[64:65]
	v_fma_f64 v[6:7], v[8:9], v[64:65], -v[0:1]
	s_waitcnt vmcnt(6)
	v_mul_f64 v[0:1], v[68:69], v[74:75]
	ds_write_b128 v30, v[10:13] offset:11840
	v_mul_f64 v[8:9], v[70:71], v[74:75]
	ds_write_b128 v30, v[4:7] offset:14400
	v_fma_f64 v[10:11], v[70:71], v[72:73], -v[0:1]
	s_waitcnt vmcnt(3)
	v_mul_f64 v[4:5], v[86:87], v[78:79]
	v_mul_f64 v[0:1], v[84:85], v[78:79]
	v_fmac_f64_e32 v[8:9], v[68:69], v[72:73]
	v_fmac_f64_e32 v[4:5], v[84:85], v[76:77]
	v_fma_f64 v[6:7], v[86:87], v[76:77], -v[0:1]
	s_waitcnt vmcnt(2)
	v_mul_f64 v[0:1], v[88:89], v[82:83]
	v_mul_f64 v[14:15], v[50:51], v[54:55]
	ds_write_b128 v30, v[8:11] offset:16960
	v_mul_f64 v[8:9], v[90:91], v[82:83]
	ds_write_b128 v30, v[4:7] offset:19520
	v_fma_f64 v[10:11], v[90:91], v[80:81], -v[0:1]
	s_waitcnt vmcnt(0)
	v_mul_f64 v[4:5], v[98:99], v[94:95]
	v_mul_f64 v[0:1], v[96:97], v[94:95]
	v_fmac_f64_e32 v[14:15], v[48:49], v[52:53]
	v_fmac_f64_e32 v[8:9], v[88:89], v[80:81]
	;; [unrolled: 1-line block ×3, first 2 shown]
	v_fma_f64 v[6:7], v[98:99], v[92:93], -v[0:1]
	ds_write_b128 v30, v[14:17] offset:9280
	ds_write_b128 v30, v[8:11] offset:22080
	;; [unrolled: 1-line block ×3, first 2 shown]
.LBB0_3:
	s_or_b64 exec, exec, s[14:15]
	s_waitcnt lgkmcnt(0)
	s_barrier
	ds_read_b128 v[80:83], v30
	ds_read_b128 v[84:87], v30 offset:2560
	ds_read_b128 v[104:107], v30 offset:5120
	;; [unrolled: 1-line block ×9, first 2 shown]
	s_load_dwordx2 s[0:1], s[0:1], 0x8
                                        ; implicit-def: $vgpr56_vgpr57
                                        ; implicit-def: $vgpr64_vgpr65
                                        ; implicit-def: $vgpr68_vgpr69
                                        ; implicit-def: $vgpr72_vgpr73
                                        ; implicit-def: $vgpr76_vgpr77
                                        ; implicit-def: $vgpr60_vgpr61
                                        ; implicit-def: $vgpr52_vgpr53
                                        ; implicit-def: $vgpr48_vgpr49
                                        ; implicit-def: $vgpr44_vgpr45
                                        ; implicit-def: $vgpr40_vgpr41
	s_and_saveexec_b64 s[2:3], vcc
	s_cbranch_execz .LBB0_5
; %bb.4:
	ds_read_b128 v[40:43], v30 offset:1600
	ds_read_b128 v[44:47], v30 offset:4160
	;; [unrolled: 1-line block ×10, first 2 shown]
.LBB0_5:
	s_or_b64 exec, exec, s[2:3]
	s_mov_b64 s[2:3], 0x64
	v_lshl_add_u64 v[0:1], v[2:3], 0, s[2:3]
	s_waitcnt lgkmcnt(0)
	v_add_f64 v[6:7], v[108:109], v[112:113]
	s_mov_b32 s2, 0x134454ff
	v_fma_f64 v[6:7], -0.5, v[6:7], v[80:81]
	v_add_f64 v[8:9], v[106:107], -v[118:119]
	s_mov_b32 s3, 0x3fee6f0e
	s_mov_b32 s8, 0x4755a5e
	;; [unrolled: 1-line block ×4, first 2 shown]
	v_fma_f64 v[10:11], s[2:3], v[8:9], v[6:7]
	v_add_f64 v[12:13], v[110:111], -v[114:115]
	s_mov_b32 s9, 0x3fe2cf23
	v_add_f64 v[14:15], v[104:105], -v[108:109]
	v_add_f64 v[16:17], v[116:117], -v[112:113]
	s_mov_b32 s12, 0x372fe950
	v_fmac_f64_e32 v[6:7], s[14:15], v[8:9]
	s_mov_b32 s19, 0xbfe2cf23
	s_mov_b32 s18, s8
	v_fmac_f64_e32 v[10:11], s[8:9], v[12:13]
	v_add_f64 v[14:15], v[14:15], v[16:17]
	s_mov_b32 s13, 0x3fd3c6ef
	v_fmac_f64_e32 v[6:7], s[18:19], v[12:13]
	v_fmac_f64_e32 v[10:11], s[12:13], v[14:15]
	;; [unrolled: 1-line block ×3, first 2 shown]
	v_add_f64 v[14:15], v[104:105], v[116:117]
	v_add_f64 v[4:5], v[80:81], v[104:105]
	v_fmac_f64_e32 v[80:81], -0.5, v[14:15]
	v_fma_f64 v[14:15], s[14:15], v[12:13], v[80:81]
	v_add_f64 v[16:17], v[108:109], -v[104:105]
	v_add_f64 v[18:19], v[112:113], -v[116:117]
	v_fmac_f64_e32 v[80:81], s[2:3], v[12:13]
	v_fmac_f64_e32 v[14:15], s[8:9], v[8:9]
	v_add_f64 v[16:17], v[16:17], v[18:19]
	v_fmac_f64_e32 v[80:81], s[18:19], v[8:9]
	v_add_f64 v[12:13], v[110:111], v[114:115]
	v_fmac_f64_e32 v[14:15], s[12:13], v[16:17]
	v_fmac_f64_e32 v[80:81], s[12:13], v[16:17]
	v_fma_f64 v[12:13], -0.5, v[12:13], v[82:83]
	v_add_f64 v[16:17], v[104:105], -v[116:117]
	v_fma_f64 v[18:19], s[14:15], v[16:17], v[12:13]
	v_add_f64 v[20:21], v[108:109], -v[112:113]
	v_add_f64 v[22:23], v[106:107], -v[110:111]
	;; [unrolled: 1-line block ×3, first 2 shown]
	v_fmac_f64_e32 v[12:13], s[2:3], v[16:17]
	v_fmac_f64_e32 v[18:19], s[18:19], v[20:21]
	v_add_f64 v[22:23], v[22:23], v[24:25]
	v_fmac_f64_e32 v[12:13], s[8:9], v[20:21]
	v_fmac_f64_e32 v[18:19], s[12:13], v[22:23]
	;; [unrolled: 1-line block ×3, first 2 shown]
	v_add_f64 v[22:23], v[106:107], v[118:119]
	v_add_f64 v[8:9], v[82:83], v[106:107]
	v_fmac_f64_e32 v[82:83], -0.5, v[22:23]
	v_fma_f64 v[22:23], s[2:3], v[20:21], v[82:83]
	v_add_f64 v[24:25], v[110:111], -v[106:107]
	v_add_f64 v[26:27], v[114:115], -v[118:119]
	v_fmac_f64_e32 v[82:83], s[14:15], v[20:21]
	v_fmac_f64_e32 v[22:23], s[18:19], v[16:17]
	v_add_f64 v[24:25], v[24:25], v[26:27]
	v_fmac_f64_e32 v[82:83], s[8:9], v[16:17]
	v_add_f64 v[20:21], v[92:93], v[96:97]
	v_fmac_f64_e32 v[22:23], s[12:13], v[24:25]
	v_fmac_f64_e32 v[82:83], s[12:13], v[24:25]
	v_fma_f64 v[20:21], -0.5, v[20:21], v[84:85]
	v_add_f64 v[24:25], v[90:91], -v[102:103]
	v_fma_f64 v[26:27], s[2:3], v[24:25], v[20:21]
	v_add_f64 v[32:33], v[94:95], -v[98:99]
	v_add_f64 v[34:35], v[88:89], -v[92:93]
	;; [unrolled: 1-line block ×3, first 2 shown]
	v_fmac_f64_e32 v[20:21], s[14:15], v[24:25]
	v_fmac_f64_e32 v[26:27], s[8:9], v[32:33]
	v_add_f64 v[34:35], v[34:35], v[36:37]
	v_fmac_f64_e32 v[20:21], s[18:19], v[32:33]
	v_fmac_f64_e32 v[26:27], s[12:13], v[34:35]
	;; [unrolled: 1-line block ×3, first 2 shown]
	v_add_f64 v[34:35], v[88:89], v[100:101]
	v_add_f64 v[16:17], v[84:85], v[88:89]
	v_fmac_f64_e32 v[84:85], -0.5, v[34:35]
	v_fma_f64 v[34:35], s[14:15], v[32:33], v[84:85]
	v_add_f64 v[36:37], v[92:93], -v[88:89]
	v_add_f64 v[38:39], v[96:97], -v[100:101]
	v_fmac_f64_e32 v[84:85], s[2:3], v[32:33]
	v_fmac_f64_e32 v[34:35], s[8:9], v[24:25]
	v_add_f64 v[36:37], v[36:37], v[38:39]
	v_fmac_f64_e32 v[84:85], s[18:19], v[24:25]
	v_add_f64 v[32:33], v[94:95], v[98:99]
	v_add_f64 v[16:17], v[16:17], v[92:93]
	v_fmac_f64_e32 v[34:35], s[12:13], v[36:37]
	v_fmac_f64_e32 v[84:85], s[12:13], v[36:37]
	v_fma_f64 v[32:33], -0.5, v[32:33], v[86:87]
	v_add_f64 v[36:37], v[88:89], -v[100:101]
	v_add_f64 v[16:17], v[16:17], v[96:97]
	v_fma_f64 v[38:39], s[14:15], v[36:37], v[32:33]
	v_add_f64 v[88:89], v[92:93], -v[96:97]
	v_add_f64 v[92:93], v[90:91], -v[94:95]
	;; [unrolled: 1-line block ×3, first 2 shown]
	v_fmac_f64_e32 v[32:33], s[2:3], v[36:37]
	v_fmac_f64_e32 v[38:39], s[18:19], v[88:89]
	v_add_f64 v[92:93], v[92:93], v[96:97]
	v_fmac_f64_e32 v[32:33], s[8:9], v[88:89]
	v_fmac_f64_e32 v[38:39], s[12:13], v[92:93]
	;; [unrolled: 1-line block ×3, first 2 shown]
	v_add_f64 v[92:93], v[90:91], v[102:103]
	v_add_f64 v[24:25], v[86:87], v[90:91]
	v_fmac_f64_e32 v[86:87], -0.5, v[92:93]
	v_fma_f64 v[106:107], s[2:3], v[88:89], v[86:87]
	v_add_f64 v[90:91], v[94:95], -v[90:91]
	v_add_f64 v[92:93], v[98:99], -v[102:103]
	v_fmac_f64_e32 v[86:87], s[14:15], v[88:89]
	v_fmac_f64_e32 v[106:107], s[18:19], v[36:37]
	v_add_f64 v[90:91], v[90:91], v[92:93]
	v_fmac_f64_e32 v[86:87], s[8:9], v[36:37]
	s_mov_b32 s20, 0x9b97f4a8
	v_add_f64 v[4:5], v[4:5], v[108:109]
	v_add_f64 v[8:9], v[8:9], v[110:111]
	v_fmac_f64_e32 v[106:107], s[12:13], v[90:91]
	v_fmac_f64_e32 v[86:87], s[12:13], v[90:91]
	s_mov_b32 s21, 0x3fe9e377
	v_mul_f64 v[90:91], v[84:85], s[12:13]
	v_add_f64 v[4:5], v[4:5], v[112:113]
	v_add_f64 v[8:9], v[8:9], v[114:115]
	v_fma_f64 v[114:115], v[86:87], s[2:3], -v[90:91]
	v_mul_f64 v[90:91], v[20:21], s[20:21]
	v_add_f64 v[4:5], v[4:5], v[116:117]
	v_add_f64 v[8:9], v[8:9], v[118:119]
	;; [unrolled: 1-line block ×4, first 2 shown]
	v_mul_f64 v[110:111], v[106:107], s[2:3]
	v_fma_f64 v[118:119], v[32:33], s[8:9], -v[90:91]
	v_mul_f64 v[32:33], v[32:33], s[20:21]
	v_add_f64 v[24:25], v[24:25], v[98:99]
	v_add_f64 v[88:89], v[4:5], v[16:17]
	v_mul_f64 v[36:37], v[26:27], s[20:21]
	v_fmac_f64_e32 v[110:111], s[12:13], v[34:35]
	v_mul_f64 v[34:35], v[34:35], s[14:15]
	v_fma_f64 v[20:21], v[20:21], s[18:19], -v[32:33]
	v_add_f64 v[108:109], v[4:5], -v[16:17]
	v_add_f64 v[4:5], v[64:65], v[60:61]
	v_add_f64 v[24:25], v[24:25], v[102:103]
	v_fmac_f64_e32 v[36:37], s[8:9], v[38:39]
	v_add_f64 v[104:105], v[6:7], v[118:119]
	v_fmac_f64_e32 v[34:35], s[12:13], v[106:107]
	v_add_f64 v[106:107], v[12:13], v[20:21]
	v_add_f64 v[124:125], v[6:7], -v[118:119]
	v_add_f64 v[126:127], v[12:13], -v[20:21]
	v_fma_f64 v[6:7], -0.5, v[4:5], v[40:41]
	v_add_f64 v[12:13], v[50:51], -v[74:75]
	v_add_f64 v[92:93], v[10:11], v[36:37]
	v_add_f64 v[96:97], v[14:15], v[110:111]
	;; [unrolled: 1-line block ×3, first 2 shown]
	v_add_f64 v[112:113], v[10:11], -v[36:37]
	v_add_f64 v[116:117], v[14:15], -v[110:111]
	;; [unrolled: 1-line block ×3, first 2 shown]
	v_fma_f64 v[4:5], s[2:3], v[12:13], v[6:7]
	v_add_f64 v[14:15], v[62:63], -v[66:67]
	v_add_f64 v[8:9], v[48:49], -v[60:61]
	;; [unrolled: 1-line block ×3, first 2 shown]
	v_fmac_f64_e32 v[6:7], s[14:15], v[12:13]
	v_fmac_f64_e32 v[4:5], s[8:9], v[14:15]
	v_add_f64 v[8:9], v[10:11], v[8:9]
	v_fmac_f64_e32 v[6:7], s[18:19], v[14:15]
	v_fmac_f64_e32 v[4:5], s[12:13], v[8:9]
	;; [unrolled: 1-line block ×3, first 2 shown]
	v_add_f64 v[8:9], v[72:73], v[48:49]
	v_mul_f64 v[26:27], v[26:27], s[18:19]
	v_fma_f64 v[10:11], -0.5, v[8:9], v[40:41]
	v_fmac_f64_e32 v[26:27], s[20:21], v[38:39]
	v_fma_f64 v[8:9], s[14:15], v[14:15], v[10:11]
	v_fmac_f64_e32 v[10:11], s[2:3], v[14:15]
	v_add_f64 v[100:101], v[80:81], v[114:115]
	v_add_f64 v[94:95], v[18:19], v[26:27]
	v_add_f64 v[120:121], v[80:81], -v[114:115]
	v_add_f64 v[114:115], v[18:19], -v[26:27]
	v_fmac_f64_e32 v[8:9], s[8:9], v[12:13]
	v_add_f64 v[16:17], v[60:61], -v[48:49]
	v_add_f64 v[18:19], v[64:65], -v[72:73]
	v_fmac_f64_e32 v[10:11], s[18:19], v[12:13]
	v_add_f64 v[12:13], v[66:67], v[62:63]
	v_add_f64 v[16:17], v[18:19], v[16:17]
	v_fma_f64 v[14:15], -0.5, v[12:13], v[42:43]
	v_add_f64 v[20:21], v[48:49], -v[72:73]
	v_add_f64 v[98:99], v[22:23], v[34:35]
	v_add_f64 v[118:119], v[22:23], -v[34:35]
	v_fmac_f64_e32 v[8:9], s[12:13], v[16:17]
	v_fmac_f64_e32 v[10:11], s[12:13], v[16:17]
	v_fma_f64 v[12:13], s[14:15], v[20:21], v[14:15]
	v_add_f64 v[22:23], v[60:61], -v[64:65]
	v_add_f64 v[16:17], v[50:51], -v[62:63]
	;; [unrolled: 1-line block ×3, first 2 shown]
	v_fmac_f64_e32 v[14:15], s[2:3], v[20:21]
	v_fmac_f64_e32 v[12:13], s[18:19], v[22:23]
	v_add_f64 v[16:17], v[18:19], v[16:17]
	v_fmac_f64_e32 v[14:15], s[8:9], v[22:23]
	v_fmac_f64_e32 v[12:13], s[12:13], v[16:17]
	;; [unrolled: 1-line block ×3, first 2 shown]
	v_add_f64 v[16:17], v[74:75], v[50:51]
	v_fma_f64 v[18:19], -0.5, v[16:17], v[42:43]
	v_fma_f64 v[16:17], s[2:3], v[22:23], v[18:19]
	v_fmac_f64_e32 v[18:19], s[14:15], v[22:23]
	v_fmac_f64_e32 v[16:17], s[18:19], v[20:21]
	v_add_f64 v[24:25], v[62:63], -v[50:51]
	v_add_f64 v[26:27], v[66:67], -v[74:75]
	v_fmac_f64_e32 v[18:19], s[8:9], v[20:21]
	v_add_f64 v[20:21], v[56:57], v[68:69]
	v_add_f64 v[24:25], v[26:27], v[24:25]
	v_fma_f64 v[32:33], -0.5, v[20:21], v[44:45]
	v_add_f64 v[20:21], v[54:55], -v[78:79]
	v_fmac_f64_e32 v[16:17], s[12:13], v[24:25]
	v_fmac_f64_e32 v[18:19], s[12:13], v[24:25]
	v_fma_f64 v[34:35], s[2:3], v[20:21], v[32:33]
	v_add_f64 v[22:23], v[58:59], -v[70:71]
	v_add_f64 v[24:25], v[52:53], -v[56:57]
	;; [unrolled: 1-line block ×3, first 2 shown]
	v_fmac_f64_e32 v[32:33], s[14:15], v[20:21]
	v_fmac_f64_e32 v[34:35], s[8:9], v[22:23]
	v_add_f64 v[24:25], v[26:27], v[24:25]
	v_fmac_f64_e32 v[32:33], s[18:19], v[22:23]
	v_mul_f64 v[38:39], v[86:87], s[12:13]
	v_fmac_f64_e32 v[34:35], s[12:13], v[24:25]
	v_fmac_f64_e32 v[32:33], s[12:13], v[24:25]
	v_add_f64 v[24:25], v[76:77], v[52:53]
	v_fma_f64 v[38:39], v[84:85], s[14:15], -v[38:39]
	v_fma_f64 v[36:37], -0.5, v[24:25], v[44:45]
	v_add_f64 v[102:103], v[82:83], v[38:39]
	v_add_f64 v[122:123], v[82:83], -v[38:39]
	v_fma_f64 v[38:39], s[14:15], v[22:23], v[36:37]
	v_fmac_f64_e32 v[36:37], s[2:3], v[22:23]
	v_fmac_f64_e32 v[38:39], s[8:9], v[20:21]
	v_add_f64 v[24:25], v[56:57], -v[52:53]
	v_add_f64 v[26:27], v[68:69], -v[76:77]
	v_fmac_f64_e32 v[36:37], s[18:19], v[20:21]
	v_add_f64 v[20:21], v[58:59], v[70:71]
	v_add_f64 v[24:25], v[26:27], v[24:25]
	v_fma_f64 v[86:87], -0.5, v[20:21], v[46:47]
	v_add_f64 v[20:21], v[52:53], -v[76:77]
	v_fmac_f64_e32 v[38:39], s[12:13], v[24:25]
	v_fmac_f64_e32 v[36:37], s[12:13], v[24:25]
	v_fma_f64 v[82:83], s[14:15], v[20:21], v[86:87]
	v_add_f64 v[22:23], v[56:57], -v[68:69]
	v_add_f64 v[24:25], v[54:55], -v[58:59]
	;; [unrolled: 1-line block ×3, first 2 shown]
	v_fmac_f64_e32 v[86:87], s[2:3], v[20:21]
	v_fmac_f64_e32 v[82:83], s[18:19], v[22:23]
	v_add_f64 v[24:25], v[26:27], v[24:25]
	v_fmac_f64_e32 v[86:87], s[8:9], v[22:23]
	v_fmac_f64_e32 v[82:83], s[12:13], v[24:25]
	;; [unrolled: 1-line block ×3, first 2 shown]
	v_add_f64 v[24:25], v[78:79], v[54:55]
	v_fma_f64 v[84:85], -0.5, v[24:25], v[46:47]
	v_fma_f64 v[128:129], s[2:3], v[22:23], v[84:85]
	v_add_f64 v[24:25], v[58:59], -v[54:55]
	v_add_f64 v[26:27], v[70:71], -v[78:79]
	v_fmac_f64_e32 v[84:85], s[14:15], v[22:23]
	v_add_f64 v[24:25], v[26:27], v[24:25]
	v_fmac_f64_e32 v[84:85], s[8:9], v[20:21]
	v_fmac_f64_e32 v[128:129], s[18:19], v[20:21]
	;; [unrolled: 1-line block ×3, first 2 shown]
	v_mul_f64 v[20:21], v[82:83], s[8:9]
	v_fmac_f64_e32 v[128:129], s[12:13], v[24:25]
	v_fmac_f64_e32 v[20:21], s[20:21], v[34:35]
	v_mul_f64 v[24:25], v[36:37], s[12:13]
	v_mul_f64 v[80:81], v[34:35], s[18:19]
	;; [unrolled: 1-line block ×4, first 2 shown]
	v_fma_f64 v[24:25], v[84:85], s[2:3], -v[24:25]
	v_mul_f64 v[26:27], v[32:33], s[20:21]
	v_fmac_f64_e32 v[80:81], s[20:21], v[82:83]
	v_mul_f64 v[82:83], v[38:39], s[14:15]
	v_fma_f64 v[84:85], v[36:37], s[14:15], -v[34:35]
	v_mul_f64 v[34:35], v[86:87], s[20:21]
	v_mul_lo_u16_e32 v1, 10, v2
	v_fmac_f64_e32 v[22:23], s[12:13], v[38:39]
	v_fma_f64 v[26:27], v[86:87], s[8:9], -v[26:27]
	v_fmac_f64_e32 v[82:83], s[12:13], v[128:129]
	v_fma_f64 v[86:87], v[32:33], s[18:19], -v[34:35]
	v_lshl_add_u32 v3, v1, 4, v31
	v_mul_u32_u24_e32 v1, 10, v0
	v_add_f64 v[160:161], v[4:5], -v[20:21]
	v_add_f64 v[176:177], v[8:9], -v[22:23]
	;; [unrolled: 1-line block ×8, first 2 shown]
	v_accvgpr_write_b32 a42, v1
	s_barrier
	ds_write_b128 v3, v[88:91]
	ds_write_b128 v3, v[92:95] offset:16
	ds_write_b128 v3, v[96:99] offset:32
	;; [unrolled: 1-line block ×9, first 2 shown]
	s_and_saveexec_b64 s[2:3], vcc
	s_cbranch_execz .LBB0_7
; %bb.6:
	v_add_f64 v[32:33], v[50:51], v[42:43]
	v_add_f64 v[34:35], v[54:55], v[46:47]
	;; [unrolled: 1-line block ×16, first 2 shown]
	v_accvgpr_read_b32 v1, a42
	v_add_f64 v[54:55], v[34:35], v[32:33]
	v_add_f64 v[52:53], v[38:39], v[36:37]
	v_lshl_add_u32 v1, v1, 4, v31
	v_add_f64 v[42:43], v[32:33], -v[34:35]
	v_add_f64 v[40:41], v[36:37], -v[38:39]
	v_add_f64 v[14:15], v[14:15], v[86:87]
	v_add_f64 v[18:19], v[18:19], v[84:85]
	;; [unrolled: 1-line block ×8, first 2 shown]
	ds_write_b128 v1, v[52:55]
	ds_write_b128 v1, v[48:51] offset:16
	ds_write_b128 v1, v[44:47] offset:32
	;; [unrolled: 1-line block ×9, first 2 shown]
.LBB0_7:
	s_or_b64 exec, exec, s[2:3]
	s_movk_i32 s2, 0xcd
	v_mul_lo_u16_sdwa v1, v2, s2 dst_sel:DWORD dst_unused:UNUSED_PAD src0_sel:BYTE_0 src1_sel:DWORD
	v_lshrrev_b16_e32 v1, 11, v1
	v_mul_lo_u16_e32 v4, 10, v1
	v_sub_u16_e32 v4, v2, v4
	v_and_b32_e32 v4, 0xff, v4
	s_movk_i32 s2, 0xf0
	v_mov_b64_e32 v[6:7], s[0:1]
	v_mad_u64_u32 v[6:7], s[2:3], v4, s2, v[6:7]
	s_waitcnt lgkmcnt(0)
	s_barrier
	global_load_dwordx4 v[52:55], v[6:7], off
	global_load_dwordx4 v[48:51], v[6:7], off offset:16
	global_load_dwordx4 v[44:47], v[6:7], off offset:32
	;; [unrolled: 1-line block ×14, first 2 shown]
	ds_read_b128 v[6:9], v30
	ds_read_b128 v[10:13], v30 offset:1600
	ds_read_b128 v[14:17], v30 offset:3200
	;; [unrolled: 1-line block ×15, first 2 shown]
	s_mov_b32 s2, 0x667f3bcd
	s_mov_b32 s3, 0xbfe6a09e
	;; [unrolled: 1-line block ×12, first 2 shown]
	v_mul_u32_u24_e32 v1, 0xa0, v1
	v_or_b32_e32 v1, v1, v4
	v_lshl_add_u32 v255, v1, 4, v31
	s_waitcnt lgkmcnt(0)
	s_barrier
	s_waitcnt vmcnt(14)
	v_mul_f64 v[32:33], v[10:11], v[54:55]
	s_waitcnt vmcnt(13)
	v_mul_f64 v[36:37], v[14:15], v[50:51]
	v_mul_f64 v[34:35], v[16:17], v[50:51]
	s_waitcnt vmcnt(11)
	v_mul_f64 v[146:147], v[24:25], v[42:43]
	v_mul_f64 v[38:39], v[20:21], v[46:47]
	;; [unrolled: 1-line block ×3, first 2 shown]
	s_waitcnt vmcnt(8)
	v_mul_f64 v[158:159], v[98:99], v[62:63]
	v_mul_f64 v[148:149], v[22:23], v[42:43]
	;; [unrolled: 1-line block ×7, first 2 shown]
	s_waitcnt vmcnt(7)
	v_mul_f64 v[168:169], v[100:101], v[58:59]
	s_waitcnt vmcnt(5)
	v_mul_f64 v[188:189], v[120:121], v[90:91]
	;; [unrolled: 2-line block ×3, first 2 shown]
	v_fmac_f64_e32 v[36:37], v[16:17], v[48:49]
	v_fma_f64 v[16:17], v[22:23], v[40:41], -v[146:147]
	v_fma_f64 v[22:23], v[96:97], v[60:61], -v[158:159]
	s_waitcnt vmcnt(1)
	v_mul_f64 v[96:97], v[138:139], v[114:115]
	v_mul_f64 v[26:27], v[12:13], v[54:55]
	;; [unrolled: 1-line block ×7, first 2 shown]
	v_fmac_f64_e32 v[32:33], v[12:13], v[52:53]
	v_fma_f64 v[12:13], v[14:15], v[48:49], -v[34:35]
	v_fma_f64 v[14:15], v[18:19], v[44:45], -v[38:39]
	v_fmac_f64_e32 v[144:145], v[20:21], v[44:45]
	v_fma_f64 v[18:19], v[72:73], v[68:69], -v[150:151]
	v_fmac_f64_e32 v[152:153], v[74:75], v[68:69]
	;; [unrolled: 2-line block ×3, first 2 shown]
	v_fmac_f64_e32 v[164:165], v[98:99], v[60:61]
	v_fmac_f64_e32 v[168:169], v[102:103], v[56:57]
	;; [unrolled: 1-line block ×3, first 2 shown]
	v_fma_f64 v[72:73], v[128:129], v[80:81], -v[194:195]
	v_mul_f64 v[74:75], v[128:129], v[82:83]
	v_mul_f64 v[78:79], v[132:133], v[118:119]
	v_fma_f64 v[96:97], v[136:137], v[112:113], -v[96:97]
	v_mul_f64 v[98:99], v[136:137], v[114:115]
	s_waitcnt vmcnt(0)
	v_mul_f64 v[102:103], v[140:141], v[110:111]
	v_mul_f64 v[190:191], v[126:127], v[86:87]
	v_fma_f64 v[10:11], v[10:11], v[52:53], -v[26:27]
	v_fmac_f64_e32 v[148:149], v[24:25], v[40:41]
	v_fma_f64 v[24:25], v[100:101], v[56:57], -v[166:167]
	v_fma_f64 v[26:27], v[104:105], v[92:93], -v[170:171]
	v_fmac_f64_e32 v[184:185], v[106:107], v[92:93]
	v_fma_f64 v[34:35], v[120:121], v[88:89], -v[186:187]
	v_fmac_f64_e32 v[192:193], v[126:127], v[84:85]
	v_fmac_f64_e32 v[74:75], v[130:131], v[80:81]
	v_mul_f64 v[76:77], v[134:135], v[118:119]
	v_fmac_f64_e32 v[78:79], v[134:135], v[116:117]
	v_fmac_f64_e32 v[98:99], v[138:139], v[112:113]
	v_mul_f64 v[100:101], v[142:143], v[110:111]
	v_fmac_f64_e32 v[102:103], v[142:143], v[108:109]
	v_add_f64 v[104:105], v[8:9], -v[168:169]
	v_add_f64 v[72:73], v[16:17], -v[72:73]
	;; [unrolled: 1-line block ×4, first 2 shown]
	v_fma_f64 v[38:39], v[124:125], v[84:85], -v[190:191]
	v_fma_f64 v[76:77], v[132:133], v[116:117], -v[76:77]
	v_fma_f64 v[100:101], v[140:141], v[108:109], -v[100:101]
	v_add_f64 v[74:75], v[148:149], -v[74:75]
	v_fma_f64 v[16:17], v[16:17], 2.0, -v[72:73]
	v_add_f64 v[34:35], v[12:13], -v[34:35]
	v_add_f64 v[98:99], v[156:157], -v[98:99]
	v_fma_f64 v[20:21], v[20:21], 2.0, -v[96:97]
	v_add_f64 v[124:125], v[32:33], -v[184:185]
	v_add_f64 v[78:79], v[152:153], -v[78:79]
	;; [unrolled: 1-line block ×4, first 2 shown]
	v_add_f64 v[72:73], v[104:105], v[72:73]
	v_add_f64 v[96:97], v[120:121], v[96:97]
	v_add_f64 v[24:25], v[6:7], -v[24:25]
	v_fma_f64 v[8:9], v[8:9], 2.0, -v[104:105]
	v_fma_f64 v[106:107], v[148:149], 2.0, -v[74:75]
	;; [unrolled: 1-line block ×5, first 2 shown]
	v_add_f64 v[76:77], v[18:19], -v[76:77]
	v_fma_f64 v[126:127], v[152:153], 2.0, -v[78:79]
	v_fma_f64 v[130:131], v[144:145], 2.0, -v[128:129]
	v_add_f64 v[100:101], v[22:23], -v[100:101]
	v_fma_f64 v[132:133], v[164:165], 2.0, -v[102:103]
	v_fma_f64 v[104:105], v[104:105], 2.0, -v[72:73]
	;; [unrolled: 3-line block ×3, first 2 shown]
	v_fma_f64 v[12:13], v[12:13], 2.0, -v[34:35]
	v_add_f64 v[26:27], v[10:11], -v[26:27]
	v_fma_f64 v[18:19], v[18:19], 2.0, -v[76:77]
	v_add_f64 v[38:39], v[14:15], -v[38:39]
	;; [unrolled: 2-line block ×3, first 2 shown]
	v_add_f64 v[74:75], v[24:25], -v[74:75]
	v_add_f64 v[122:123], v[36:37], -v[122:123]
	v_fma_f64 v[34:35], v[34:35], 2.0, -v[98:99]
	v_add_f64 v[126:127], v[32:33], -v[126:127]
	v_add_f64 v[76:77], v[124:125], v[76:77]
	v_add_f64 v[132:133], v[130:131], -v[132:133]
	v_add_f64 v[100:101], v[128:129], v[100:101]
	v_fma_f64 v[140:141], s[2:3], v[120:121], v[104:105]
	v_fma_f64 v[10:11], v[10:11], 2.0, -v[26:27]
	v_add_f64 v[16:17], v[6:7], -v[16:17]
	v_fma_f64 v[8:9], v[8:9], 2.0, -v[106:107]
	v_fma_f64 v[24:25], v[24:25], 2.0, -v[74:75]
	;; [unrolled: 1-line block ×4, first 2 shown]
	v_add_f64 v[78:79], v[26:27], -v[78:79]
	v_fma_f64 v[124:125], v[124:125], 2.0, -v[76:77]
	v_fma_f64 v[130:131], v[130:131], 2.0, -v[132:133]
	v_add_f64 v[102:103], v[38:39], -v[102:103]
	v_fma_f64 v[128:129], v[128:129], 2.0, -v[100:101]
	v_fmac_f64_e32 v[140:141], s[8:9], v[34:35]
	v_fma_f64 v[14:15], v[14:15], 2.0, -v[38:39]
	v_add_f64 v[18:19], v[10:11], -v[18:19]
	v_fma_f64 v[26:27], v[26:27], 2.0, -v[78:79]
	v_fma_f64 v[38:39], v[38:39], 2.0, -v[102:103]
	v_add_f64 v[36:37], v[8:9], -v[36:37]
	v_fma_f64 v[138:139], s[2:3], v[34:35], v[24:25]
	v_fma_f64 v[34:35], v[104:105], 2.0, -v[140:141]
	v_add_f64 v[104:105], v[16:17], -v[122:123]
	v_add_f64 v[122:123], v[32:33], -v[130:131]
	v_fma_f64 v[130:131], s[2:3], v[128:129], v[124:125]
	v_add_f64 v[20:21], v[12:13], -v[20:21]
	v_add_f64 v[22:23], v[14:15], -v[22:23]
	v_fma_f64 v[136:137], v[8:9], 2.0, -v[36:37]
	v_fma_f64 v[144:145], s[8:9], v[98:99], v[74:75]
	v_fma_f64 v[146:147], s[8:9], v[96:97], v[72:73]
	v_fma_f64 v[8:9], v[32:33], 2.0, -v[122:123]
	v_fma_f64 v[32:33], s[2:3], v[38:39], v[26:27]
	v_fmac_f64_e32 v[130:131], s[8:9], v[38:39]
	v_add_f64 v[38:39], v[18:19], -v[132:133]
	v_fma_f64 v[132:133], s[8:9], v[102:103], v[78:79]
	v_fma_f64 v[148:149], s[8:9], v[100:101], v[76:77]
	v_fma_f64 v[6:7], v[6:7], 2.0, -v[16:17]
	v_fma_f64 v[12:13], v[12:13], 2.0, -v[20:21]
	;; [unrolled: 1-line block ×4, first 2 shown]
	v_fmac_f64_e32 v[144:145], s[2:3], v[96:97]
	v_fmac_f64_e32 v[146:147], s[8:9], v[98:99]
	v_fmac_f64_e32 v[132:133], s[2:3], v[100:101]
	v_fmac_f64_e32 v[148:149], s[8:9], v[102:103]
	v_add_f64 v[134:135], v[6:7], -v[12:13]
	v_fmac_f64_e32 v[138:139], s[2:3], v[120:121]
	v_fma_f64 v[74:75], v[74:75], 2.0, -v[144:145]
	v_fma_f64 v[96:97], v[72:73], 2.0, -v[146:147]
	v_add_f64 v[98:99], v[10:11], -v[14:15]
	v_fmac_f64_e32 v[32:33], s[2:3], v[128:129]
	v_fma_f64 v[78:79], v[78:79], 2.0, -v[132:133]
	v_fma_f64 v[76:77], v[76:77], 2.0, -v[148:149]
	;; [unrolled: 1-line block ×3, first 2 shown]
	v_add_f64 v[142:143], v[106:107], v[20:21]
	v_fma_f64 v[120:121], v[16:17], 2.0, -v[104:105]
	v_fma_f64 v[6:7], v[10:11], 2.0, -v[98:99]
	;; [unrolled: 1-line block ×4, first 2 shown]
	v_add_f64 v[128:129], v[126:127], v[22:23]
	v_fma_f64 v[22:23], v[18:19], 2.0, -v[38:39]
	v_fma_f64 v[100:101], s[12:13], v[78:79], v[74:75]
	v_fma_f64 v[102:103], s[12:13], v[76:77], v[96:97]
	;; [unrolled: 1-line block ×3, first 2 shown]
	v_fma_f64 v[24:25], v[24:25], 2.0, -v[138:139]
	v_fma_f64 v[106:107], v[106:107], 2.0, -v[142:143]
	;; [unrolled: 1-line block ×3, first 2 shown]
	v_add_f64 v[6:7], v[12:13], -v[6:7]
	v_add_f64 v[8:9], v[136:137], -v[8:9]
	v_fma_f64 v[204:205], s[2:3], v[22:23], v[120:121]
	v_fmac_f64_e32 v[100:101], s[14:15], v[76:77]
	v_fmac_f64_e32 v[102:103], s[20:21], v[78:79]
	;; [unrolled: 1-line block ×3, first 2 shown]
	v_fma_f64 v[10:11], v[12:13], 2.0, -v[6:7]
	v_fma_f64 v[12:13], v[136:137], 2.0, -v[8:9]
	v_fma_f64 v[14:15], s[14:15], v[20:21], v[24:25]
	v_fma_f64 v[206:207], s[2:3], v[72:73], v[106:107]
	v_fmac_f64_e32 v[204:205], s[2:3], v[72:73]
	v_fma_f64 v[72:73], v[74:75], 2.0, -v[100:101]
	v_fma_f64 v[74:75], v[96:97], 2.0, -v[102:103]
	v_fma_f64 v[126:127], s[18:19], v[130:131], v[140:141]
	v_fma_f64 v[96:97], v[138:139], 2.0, -v[124:125]
	v_fma_f64 v[136:137], s[8:9], v[38:39], v[104:105]
	v_fma_f64 v[138:139], s[8:9], v[128:129], v[142:143]
	v_fma_f64 v[16:17], s[14:15], v[26:27], v[34:35]
	v_fmac_f64_e32 v[14:15], s[12:13], v[26:27]
	v_fmac_f64_e32 v[206:207], s[8:9], v[22:23]
	v_fma_f64 v[22:23], v[120:121], 2.0, -v[204:205]
	v_add_f64 v[120:121], v[134:135], -v[122:123]
	v_add_f64 v[122:123], v[36:37], v[98:99]
	v_fmac_f64_e32 v[126:127], s[20:21], v[32:33]
	v_fmac_f64_e32 v[136:137], s[2:3], v[128:129]
	;; [unrolled: 1-line block ×3, first 2 shown]
	v_fma_f64 v[188:189], s[20:21], v[132:133], v[144:145]
	v_fma_f64 v[190:191], s[20:21], v[148:149], v[146:147]
	v_fmac_f64_e32 v[16:17], s[18:19], v[20:21]
	v_fma_f64 v[18:19], v[24:25], 2.0, -v[14:15]
	v_fma_f64 v[24:25], v[106:107], 2.0, -v[206:207]
	;; [unrolled: 1-line block ×7, first 2 shown]
	v_fmac_f64_e32 v[188:189], s[12:13], v[148:149]
	v_fmac_f64_e32 v[190:191], s[18:19], v[132:133]
	v_fma_f64 v[20:21], v[34:35], 2.0, -v[16:17]
	v_fma_f64 v[128:129], v[144:145], 2.0, -v[188:189]
	;; [unrolled: 1-line block ×3, first 2 shown]
	ds_write_b128 v255, v[10:13]
	ds_write_b128 v255, v[18:21] offset:160
	ds_write_b128 v255, v[22:25] offset:320
	;; [unrolled: 1-line block ×15, first 2 shown]
	s_waitcnt lgkmcnt(0)
	s_barrier
	ds_read_b128 v[184:187], v30
	ds_read_b128 v[164:167], v30 offset:2560
	ds_read_b128 v[152:155], v30 offset:5120
	;; [unrolled: 1-line block ×9, first 2 shown]
	s_and_saveexec_b64 s[2:3], vcc
	s_cbranch_execz .LBB0_9
; %bb.8:
	ds_read_b128 v[204:207], v30 offset:1600
	ds_read_b128 v[100:103], v30 offset:4160
	;; [unrolled: 1-line block ×10, first 2 shown]
.LBB0_9:
	s_or_b64 exec, exec, s[2:3]
	s_movk_i32 s2, 0x90
	v_mov_b64_e32 v[4:5], s[0:1]
	v_mad_u64_u32 v[4:5], s[2:3], v2, s2, v[4:5]
	global_load_dwordx4 v[128:131], v[4:5], off offset:2448
	global_load_dwordx4 v[132:135], v[4:5], off offset:2432
	;; [unrolled: 1-line block ×4, first 2 shown]
	v_subrev_u32_e32 v1, 60, v2
	v_cndmask_b32_e32 v0, v1, v0, vcc
	v_mul_hi_i32_i24_e32 v1, 0x90, v0
	v_mul_i32_i24_e32 v0, 0x90, v0
	v_lshl_add_u64 v[32:33], s[0:1], 0, v[0:1]
	s_mov_b32 s0, 0x134454ff
	s_mov_b32 s1, 0x3fee6f0e
	;; [unrolled: 1-line block ×12, first 2 shown]
	s_waitcnt vmcnt(3) lgkmcnt(5)
	v_mul_f64 v[212:213], v[144:145], v[130:131]
	s_waitcnt vmcnt(2)
	v_mul_f64 v[198:199], v[148:149], v[134:135]
	s_waitcnt vmcnt(1)
	;; [unrolled: 2-line block ×3, first 2 shown]
	v_mul_f64 v[6:7], v[166:167], v[158:159]
	v_fma_f64 v[192:193], v[164:165], v[156:157], -v[6:7]
	v_mul_f64 v[6:7], v[154:155], v[142:143]
	v_fma_f64 v[214:215], v[152:153], v[140:141], -v[6:7]
	v_mul_f64 v[6:7], v[150:151], v[134:135]
	v_mul_f64 v[194:195], v[164:165], v[158:159]
	v_fma_f64 v[200:201], v[148:149], v[132:133], -v[6:7]
	v_mul_f64 v[6:7], v[146:147], v[130:131]
	v_fmac_f64_e32 v[194:195], v[166:167], v[156:157]
	v_fmac_f64_e32 v[210:211], v[154:155], v[140:141]
	;; [unrolled: 1-line block ×3, first 2 shown]
	v_fma_f64 v[216:217], v[144:145], v[128:129], -v[6:7]
	v_fmac_f64_e32 v[212:213], v[146:147], v[128:129]
	global_load_dwordx4 v[144:147], v[4:5], off offset:2512
	global_load_dwordx4 v[148:151], v[4:5], off offset:2496
	;; [unrolled: 1-line block ×4, first 2 shown]
	s_waitcnt vmcnt(3) lgkmcnt(1)
	v_mul_f64 v[220:221], v[76:77], v[146:147]
	v_fmac_f64_e32 v[220:221], v[78:79], v[144:145]
	s_waitcnt vmcnt(1)
	v_mul_f64 v[8:9], v[106:107], v[154:155]
	s_waitcnt vmcnt(0)
	v_mul_f64 v[6:7], v[170:171], v[166:167]
	v_fma_f64 v[14:15], v[168:169], v[164:165], -v[6:7]
	v_mul_f64 v[6:7], v[168:169], v[166:167]
	v_fmac_f64_e32 v[6:7], v[170:171], v[164:165]
	global_load_dwordx4 v[168:171], v[4:5], off offset:2528
	v_mul_f64 v[218:219], v[104:105], v[154:155]
	v_fma_f64 v[224:225], v[104:105], v[152:153], -v[8:9]
	v_fmac_f64_e32 v[218:219], v[106:107], v[152:153]
	global_load_dwordx4 v[34:37], v[32:33], off offset:2448
	global_load_dwordx4 v[20:23], v[32:33], off offset:2432
	global_load_dwordx4 v[104:107], v[32:33], off offset:2416
	global_load_dwordx4 v[24:27], v[32:33], off offset:2400
	v_mul_f64 v[8:9], v[98:99], v[150:151]
	v_fma_f64 v[18:19], v[96:97], v[148:149], -v[8:9]
	v_mul_f64 v[8:9], v[78:79], v[146:147]
	v_fma_f64 v[226:227], v[76:77], v[144:145], -v[8:9]
	v_add_f64 v[76:77], v[226:227], -v[224:225]
	v_add_f64 v[78:79], v[224:225], -v[226:227]
	v_mul_f64 v[10:11], v[96:97], v[150:151]
	v_fmac_f64_e32 v[10:11], v[98:99], v[148:149]
	v_add_f64 v[96:97], v[216:217], -v[224:225]
	v_add_f64 v[98:99], v[210:211], -v[212:213]
	s_waitcnt vmcnt(4) lgkmcnt(0)
	v_mul_f64 v[4:5], v[74:75], v[170:171]
	v_fma_f64 v[228:229], v[72:73], v[168:169], -v[4:5]
	s_waitcnt vmcnt(2)
	v_mul_f64 v[8:9], v[126:127], v[22:23]
	s_waitcnt vmcnt(1)
	v_mul_f64 v[4:5], v[122:123], v[106:107]
	v_fma_f64 v[208:209], v[124:125], v[20:21], -v[8:9]
	v_mul_f64 v[8:9], v[138:139], v[36:37]
	s_waitcnt vmcnt(0)
	v_mul_f64 v[0:1], v[102:103], v[26:27]
	v_mul_f64 v[196:197], v[100:101], v[26:27]
	v_fma_f64 v[12:13], v[120:121], v[104:105], -v[4:5]
	v_mul_f64 v[4:5], v[120:121], v[106:107]
	v_mul_f64 v[202:203], v[124:125], v[22:23]
	v_fma_f64 v[16:17], v[136:137], v[34:35], -v[8:9]
	v_mul_f64 v[8:9], v[136:137], v[36:37]
	v_fma_f64 v[0:1], v[100:101], v[24:25], -v[0:1]
	v_fmac_f64_e32 v[196:197], v[102:103], v[24:25]
	v_fmac_f64_e32 v[4:5], v[122:123], v[104:105]
	;; [unrolled: 1-line block ×4, first 2 shown]
	global_load_dwordx4 v[124:127], v[32:33], off offset:2512
	global_load_dwordx4 v[100:103], v[32:33], off offset:2496
	;; [unrolled: 1-line block ×4, first 2 shown]
	v_accvgpr_write_b32 a47, v23
	v_accvgpr_write_b32 a46, v22
	;; [unrolled: 1-line block ×12, first 2 shown]
	v_add_f64 v[34:35], v[216:217], v[224:225]
	v_mul_f64 v[222:223], v[72:73], v[170:171]
	v_fma_f64 v[34:35], -0.5, v[34:35], v[184:185]
	v_add_f64 v[36:37], v[210:211], -v[220:221]
	v_fmac_f64_e32 v[222:223], v[74:75], v[168:169]
	v_fma_f64 v[38:39], s[0:1], v[36:37], v[34:35]
	v_add_f64 v[72:73], v[212:213], -v[218:219]
	v_add_f64 v[74:75], v[214:215], -v[216:217]
	v_fmac_f64_e32 v[34:35], s[12:13], v[36:37]
	v_fmac_f64_e32 v[38:39], s[8:9], v[72:73]
	v_add_f64 v[74:75], v[74:75], v[76:77]
	v_fmac_f64_e32 v[34:35], s[14:15], v[72:73]
	v_fmac_f64_e32 v[38:39], s[2:3], v[74:75]
	;; [unrolled: 1-line block ×3, first 2 shown]
	v_add_f64 v[74:75], v[214:215], v[226:227]
	v_add_f64 v[76:77], v[216:217], -v[214:215]
	v_add_f64 v[76:77], v[76:77], v[78:79]
	s_waitcnt vmcnt(3)
	v_mul_f64 v[26:27], v[182:183], v[126:127]
	v_fma_f64 v[26:27], v[180:181], v[124:125], -v[26:27]
	s_waitcnt vmcnt(1)
	v_mul_f64 v[22:23], v[162:163], v[122:123]
	s_waitcnt vmcnt(0)
	v_mul_f64 v[20:21], v[190:191], v[138:139]
	v_fma_f64 v[20:21], v[188:189], v[136:137], -v[20:21]
	v_mul_f64 v[188:189], v[188:189], v[138:139]
	v_fmac_f64_e32 v[188:189], v[190:191], v[136:137]
	v_mul_f64 v[190:191], v[160:161], v[122:123]
	v_fma_f64 v[24:25], v[160:161], v[120:121], -v[22:23]
	v_fmac_f64_e32 v[190:191], v[162:163], v[120:121]
	global_load_dwordx4 v[160:163], v[32:33], off offset:2528
	v_mul_f64 v[22:23], v[178:179], v[102:103]
	v_fma_f64 v[22:23], v[176:177], v[100:101], -v[22:23]
	v_mul_f64 v[176:177], v[176:177], v[102:103]
	v_fmac_f64_e32 v[176:177], v[178:179], v[100:101]
	v_mul_f64 v[178:179], v[180:181], v[126:127]
	v_fmac_f64_e32 v[178:179], v[182:183], v[124:125]
	v_add_f64 v[182:183], v[218:219], -v[220:221]
	s_waitcnt vmcnt(0)
	v_mul_f64 v[32:33], v[174:175], v[162:163]
	v_fma_f64 v[180:181], v[172:173], v[160:161], -v[32:33]
	v_add_f64 v[32:33], v[184:185], v[214:215]
	v_fmac_f64_e32 v[184:185], -0.5, v[74:75]
	v_fma_f64 v[74:75], s[12:13], v[72:73], v[184:185]
	v_fmac_f64_e32 v[184:185], s[0:1], v[72:73]
	v_fmac_f64_e32 v[74:75], s[8:9], v[36:37]
	;; [unrolled: 1-line block ×3, first 2 shown]
	v_add_f64 v[72:73], v[212:213], v[218:219]
	v_mul_f64 v[172:173], v[172:173], v[162:163]
	v_fmac_f64_e32 v[74:75], s[2:3], v[76:77]
	v_fmac_f64_e32 v[184:185], s[2:3], v[76:77]
	v_fma_f64 v[72:73], -0.5, v[72:73], v[186:187]
	v_add_f64 v[76:77], v[214:215], -v[226:227]
	v_fmac_f64_e32 v[172:173], v[174:175], v[160:161]
	v_fma_f64 v[78:79], s[12:13], v[76:77], v[72:73]
	v_add_f64 v[174:175], v[220:221], -v[218:219]
	v_fmac_f64_e32 v[72:73], s[0:1], v[76:77]
	v_fmac_f64_e32 v[78:79], s[14:15], v[96:97]
	v_add_f64 v[98:99], v[98:99], v[174:175]
	v_fmac_f64_e32 v[72:73], s[8:9], v[96:97]
	v_fmac_f64_e32 v[78:79], s[2:3], v[98:99]
	;; [unrolled: 1-line block ×3, first 2 shown]
	v_add_f64 v[98:99], v[210:211], v[220:221]
	v_add_f64 v[36:37], v[186:187], v[210:211]
	v_fmac_f64_e32 v[186:187], -0.5, v[98:99]
	v_fma_f64 v[98:99], s[0:1], v[96:97], v[186:187]
	v_add_f64 v[174:175], v[212:213], -v[210:211]
	v_fmac_f64_e32 v[186:187], s[12:13], v[96:97]
	v_fmac_f64_e32 v[98:99], s[14:15], v[76:77]
	v_add_f64 v[174:175], v[174:175], v[182:183]
	v_fmac_f64_e32 v[186:187], s[8:9], v[76:77]
	v_add_f64 v[96:97], v[14:15], v[18:19]
	v_fmac_f64_e32 v[98:99], s[2:3], v[174:175]
	v_fmac_f64_e32 v[186:187], s[2:3], v[174:175]
	v_fma_f64 v[96:97], -0.5, v[96:97], v[192:193]
	v_add_f64 v[174:175], v[198:199], -v[222:223]
	v_add_f64 v[36:37], v[36:37], v[212:213]
	v_fma_f64 v[182:183], s[0:1], v[174:175], v[96:97]
	v_add_f64 v[210:211], v[6:7], -v[10:11]
	v_add_f64 v[212:213], v[200:201], -v[14:15]
	;; [unrolled: 1-line block ×3, first 2 shown]
	v_fmac_f64_e32 v[96:97], s[12:13], v[174:175]
	v_fmac_f64_e32 v[182:183], s[8:9], v[210:211]
	v_add_f64 v[212:213], v[212:213], v[214:215]
	v_fmac_f64_e32 v[96:97], s[14:15], v[210:211]
	v_add_f64 v[32:33], v[32:33], v[216:217]
	v_fmac_f64_e32 v[182:183], s[2:3], v[212:213]
	v_fmac_f64_e32 v[96:97], s[2:3], v[212:213]
	v_add_f64 v[212:213], v[200:201], v[228:229]
	v_add_f64 v[32:33], v[32:33], v[224:225]
	;; [unrolled: 1-line block ×3, first 2 shown]
	v_fmac_f64_e32 v[192:193], -0.5, v[212:213]
	v_add_f64 v[32:33], v[32:33], v[226:227]
	v_fma_f64 v[226:227], s[12:13], v[210:211], v[192:193]
	v_add_f64 v[212:213], v[14:15], -v[200:201]
	v_add_f64 v[214:215], v[18:19], -v[228:229]
	v_fmac_f64_e32 v[192:193], s[0:1], v[210:211]
	v_add_f64 v[210:211], v[6:7], v[10:11]
	v_add_f64 v[76:77], v[76:77], v[14:15]
	v_fmac_f64_e32 v[226:227], s[8:9], v[174:175]
	v_add_f64 v[212:213], v[212:213], v[214:215]
	v_fmac_f64_e32 v[192:193], s[14:15], v[174:175]
	v_fma_f64 v[210:211], -0.5, v[210:211], v[194:195]
	v_add_f64 v[200:201], v[200:201], -v[228:229]
	v_add_f64 v[36:37], v[36:37], v[218:219]
	v_add_f64 v[76:77], v[76:77], v[18:19]
	v_fmac_f64_e32 v[226:227], s[2:3], v[212:213]
	v_fmac_f64_e32 v[192:193], s[2:3], v[212:213]
	v_fma_f64 v[218:219], s[12:13], v[200:201], v[210:211]
	v_add_f64 v[14:15], v[14:15], -v[18:19]
	v_add_f64 v[18:19], v[198:199], -v[6:7]
	v_add_f64 v[212:213], v[222:223], -v[10:11]
	v_fmac_f64_e32 v[210:211], s[0:1], v[200:201]
	v_fmac_f64_e32 v[218:219], s[14:15], v[14:15]
	v_add_f64 v[18:19], v[18:19], v[212:213]
	v_fmac_f64_e32 v[210:211], s[8:9], v[14:15]
	v_add_f64 v[174:175], v[194:195], v[198:199]
	v_fmac_f64_e32 v[218:219], s[2:3], v[18:19]
	v_fmac_f64_e32 v[210:211], s[2:3], v[18:19]
	v_add_f64 v[18:19], v[198:199], v[222:223]
	v_add_f64 v[174:175], v[174:175], v[6:7]
	v_fmac_f64_e32 v[194:195], -0.5, v[18:19]
	v_add_f64 v[174:175], v[174:175], v[10:11]
	v_fma_f64 v[18:19], s[0:1], v[14:15], v[194:195]
	v_add_f64 v[6:7], v[6:7], -v[198:199]
	v_add_f64 v[10:11], v[10:11], -v[222:223]
	v_fmac_f64_e32 v[18:19], s[14:15], v[200:201]
	v_add_f64 v[6:7], v[6:7], v[10:11]
	v_fmac_f64_e32 v[18:19], s[2:3], v[6:7]
	v_fmac_f64_e32 v[194:195], s[12:13], v[14:15]
	;; [unrolled: 1-line block ×3, first 2 shown]
	v_mul_f64 v[10:11], v[18:19], s[0:1]
	v_fmac_f64_e32 v[194:195], s[2:3], v[6:7]
	v_fmac_f64_e32 v[10:11], s[2:3], v[226:227]
	v_mul_f64 v[14:15], v[192:193], s[2:3]
	v_mul_f64 v[200:201], v[226:227], s[12:13]
	v_add_f64 v[76:77], v[76:77], v[228:229]
	v_add_f64 v[228:229], v[74:75], v[10:11]
	v_fma_f64 v[14:15], v[194:195], s[0:1], -v[14:15]
	v_mul_f64 v[198:199], v[96:97], s[18:19]
	v_fmac_f64_e32 v[200:201], s[2:3], v[18:19]
	v_mul_f64 v[18:19], v[194:195], s[2:3]
	v_add_f64 v[240:241], v[74:75], -v[10:11]
	v_add_f64 v[10:11], v[16:17], v[24:25]
	v_add_f64 v[36:37], v[36:37], v[220:221]
	;; [unrolled: 1-line block ×4, first 2 shown]
	v_fma_f64 v[198:199], v[210:211], s[8:9], -v[198:199]
	v_fma_f64 v[18:19], v[192:193], s[12:13], -v[18:19]
	v_add_f64 v[236:237], v[184:185], -v[14:15]
	v_fma_f64 v[10:11], -0.5, v[10:11], v[204:205]
	v_add_f64 v[14:15], v[4:5], -v[178:179]
	v_add_f64 v[212:213], v[32:33], v[76:77]
	v_add_f64 v[220:221], v[34:35], v[198:199]
	;; [unrolled: 1-line block ×4, first 2 shown]
	v_add_f64 v[248:249], v[32:33], -v[76:77]
	v_add_f64 v[232:233], v[34:35], -v[198:199]
	;; [unrolled: 1-line block ×4, first 2 shown]
	v_fma_f64 v[18:19], s[0:1], v[14:15], v[10:11]
	v_add_f64 v[32:33], v[8:9], -v[190:191]
	v_add_f64 v[34:35], v[12:13], -v[16:17]
	;; [unrolled: 1-line block ×3, first 2 shown]
	v_fmac_f64_e32 v[10:11], s[12:13], v[14:15]
	v_mul_f64 v[6:7], v[218:219], s[8:9]
	v_fmac_f64_e32 v[18:19], s[8:9], v[32:33]
	v_add_f64 v[34:35], v[34:35], v[36:37]
	v_fmac_f64_e32 v[10:11], s[14:15], v[32:33]
	v_fmac_f64_e32 v[6:7], s[18:19], v[182:183]
	;; [unrolled: 1-line block ×4, first 2 shown]
	v_add_f64 v[34:35], v[12:13], v[26:27]
	v_add_f64 v[216:217], v[38:39], v[6:7]
	v_add_f64 v[244:245], v[38:39], -v[6:7]
	v_add_f64 v[6:7], v[204:205], v[12:13]
	v_fmac_f64_e32 v[204:205], -0.5, v[34:35]
	v_add_f64 v[6:7], v[6:7], v[16:17]
	v_fma_f64 v[34:35], s[12:13], v[32:33], v[204:205]
	v_add_f64 v[36:37], v[16:17], -v[12:13]
	v_add_f64 v[38:39], v[24:25], -v[26:27]
	v_fmac_f64_e32 v[204:205], s[0:1], v[32:33]
	v_add_f64 v[32:33], v[8:9], v[190:191]
	v_add_f64 v[6:7], v[6:7], v[24:25]
	v_fmac_f64_e32 v[34:35], s[8:9], v[14:15]
	v_add_f64 v[36:37], v[36:37], v[38:39]
	v_fmac_f64_e32 v[204:205], s[14:15], v[14:15]
	v_fma_f64 v[32:33], -0.5, v[32:33], v[206:207]
	v_add_f64 v[12:13], v[12:13], -v[26:27]
	v_add_f64 v[6:7], v[6:7], v[26:27]
	v_fmac_f64_e32 v[34:35], s[2:3], v[36:37]
	v_fmac_f64_e32 v[204:205], s[2:3], v[36:37]
	v_fma_f64 v[26:27], s[12:13], v[12:13], v[32:33]
	v_add_f64 v[16:17], v[16:17], -v[24:25]
	v_add_f64 v[24:25], v[4:5], -v[8:9]
	;; [unrolled: 1-line block ×3, first 2 shown]
	v_fmac_f64_e32 v[32:33], s[0:1], v[12:13]
	v_fmac_f64_e32 v[26:27], s[14:15], v[16:17]
	v_add_f64 v[24:25], v[24:25], v[36:37]
	v_fmac_f64_e32 v[32:33], s[8:9], v[16:17]
	v_add_f64 v[14:15], v[206:207], v[4:5]
	v_fmac_f64_e32 v[26:27], s[2:3], v[24:25]
	v_fmac_f64_e32 v[32:33], s[2:3], v[24:25]
	v_add_f64 v[24:25], v[4:5], v[178:179]
	v_add_f64 v[14:15], v[14:15], v[8:9]
	v_fmac_f64_e32 v[206:207], -0.5, v[24:25]
	v_add_f64 v[4:5], v[8:9], -v[4:5]
	v_add_f64 v[8:9], v[190:191], -v[178:179]
	v_mul_f64 v[192:193], v[210:211], s[18:19]
	v_fma_f64 v[24:25], s[0:1], v[16:17], v[206:207]
	v_add_f64 v[4:5], v[4:5], v[8:9]
	v_fmac_f64_e32 v[206:207], s[12:13], v[16:17]
	v_add_f64 v[8:9], v[20:21], v[22:23]
	v_fma_f64 v[96:97], v[96:97], s[14:15], -v[192:193]
	v_fmac_f64_e32 v[24:25], s[14:15], v[12:13]
	v_fmac_f64_e32 v[206:207], s[8:9], v[12:13]
	v_fma_f64 v[8:9], -0.5, v[8:9], v[0:1]
	v_add_f64 v[12:13], v[202:203], -v[172:173]
	v_add_f64 v[222:223], v[72:73], v[96:97]
	v_add_f64 v[234:235], v[72:73], -v[96:97]
	v_fma_f64 v[16:17], s[0:1], v[12:13], v[8:9]
	v_add_f64 v[36:37], v[188:189], -v[176:177]
	v_add_f64 v[38:39], v[208:209], -v[20:21]
	;; [unrolled: 1-line block ×3, first 2 shown]
	v_fmac_f64_e32 v[8:9], s[12:13], v[12:13]
	v_fmac_f64_e32 v[16:17], s[8:9], v[36:37]
	v_add_f64 v[38:39], v[38:39], v[72:73]
	v_fmac_f64_e32 v[8:9], s[14:15], v[36:37]
	v_fmac_f64_e32 v[16:17], s[2:3], v[38:39]
	;; [unrolled: 1-line block ×3, first 2 shown]
	v_add_f64 v[38:39], v[208:209], v[180:181]
	v_fmac_f64_e32 v[24:25], s[2:3], v[4:5]
	v_fmac_f64_e32 v[206:207], s[2:3], v[4:5]
	v_add_f64 v[4:5], v[0:1], v[208:209]
	v_fmac_f64_e32 v[0:1], -0.5, v[38:39]
	v_fma_f64 v[38:39], s[12:13], v[36:37], v[0:1]
	v_add_f64 v[72:73], v[20:21], -v[208:209]
	v_add_f64 v[74:75], v[22:23], -v[180:181]
	v_fmac_f64_e32 v[0:1], s[0:1], v[36:37]
	v_fmac_f64_e32 v[38:39], s[8:9], v[12:13]
	v_add_f64 v[72:73], v[72:73], v[74:75]
	v_fmac_f64_e32 v[0:1], s[14:15], v[12:13]
	v_add_f64 v[36:37], v[188:189], v[176:177]
	v_add_f64 v[4:5], v[4:5], v[20:21]
	v_fmac_f64_e32 v[38:39], s[2:3], v[72:73]
	v_fmac_f64_e32 v[0:1], s[2:3], v[72:73]
	v_fma_f64 v[36:37], -0.5, v[36:37], v[196:197]
	v_add_f64 v[72:73], v[208:209], -v[180:181]
	v_add_f64 v[4:5], v[4:5], v[22:23]
	v_fma_f64 v[74:75], s[12:13], v[72:73], v[36:37]
	v_add_f64 v[20:21], v[20:21], -v[22:23]
	v_add_f64 v[22:23], v[202:203], -v[188:189]
	v_add_f64 v[76:77], v[172:173], -v[176:177]
	v_fmac_f64_e32 v[36:37], s[0:1], v[72:73]
	v_fmac_f64_e32 v[74:75], s[14:15], v[20:21]
	v_add_f64 v[22:23], v[22:23], v[76:77]
	v_fmac_f64_e32 v[36:37], s[8:9], v[20:21]
	v_mul_f64 v[182:183], v[182:183], s[14:15]
	v_fmac_f64_e32 v[74:75], s[2:3], v[22:23]
	v_fmac_f64_e32 v[36:37], s[2:3], v[22:23]
	v_add_f64 v[22:23], v[202:203], v[172:173]
	v_fmac_f64_e32 v[182:183], s[18:19], v[218:219]
	v_add_f64 v[12:13], v[196:197], v[202:203]
	v_fmac_f64_e32 v[196:197], -0.5, v[22:23]
	v_add_f64 v[218:219], v[78:79], v[182:183]
	v_add_f64 v[246:247], v[78:79], -v[182:183]
	v_fma_f64 v[22:23], s[0:1], v[20:21], v[196:197]
	v_add_f64 v[76:77], v[188:189], -v[202:203]
	v_add_f64 v[78:79], v[176:177], -v[172:173]
	v_fmac_f64_e32 v[22:23], s[14:15], v[72:73]
	v_add_f64 v[76:77], v[76:77], v[78:79]
	v_fmac_f64_e32 v[22:23], s[2:3], v[76:77]
	v_fmac_f64_e32 v[196:197], s[12:13], v[20:21]
	;; [unrolled: 1-line block ×3, first 2 shown]
	v_mul_f64 v[72:73], v[22:23], s[0:1]
	v_fmac_f64_e32 v[196:197], s[2:3], v[76:77]
	v_fmac_f64_e32 v[72:73], s[2:3], v[38:39]
	v_mul_f64 v[38:39], v[38:39], s[12:13]
	v_add_f64 v[12:13], v[12:13], v[188:189]
	v_mul_f64 v[20:21], v[74:75], s[8:9]
	v_fmac_f64_e32 v[38:39], s[2:3], v[22:23]
	v_mul_f64 v[22:23], v[196:197], s[2:3]
	v_add_f64 v[14:15], v[14:15], v[190:191]
	v_add_f64 v[12:13], v[12:13], v[176:177]
	v_fmac_f64_e32 v[20:21], s[18:19], v[16:17]
	v_mul_f64 v[76:77], v[0:1], s[2:3]
	v_mul_f64 v[78:79], v[8:9], s[18:19]
	;; [unrolled: 1-line block ×3, first 2 shown]
	v_fma_f64 v[0:1], v[0:1], s[12:13], -v[22:23]
	v_mul_f64 v[22:23], v[36:37], s[18:19]
	v_add_f64 v[14:15], v[14:15], v[178:179]
	v_add_f64 v[4:5], v[4:5], v[180:181]
	;; [unrolled: 1-line block ×3, first 2 shown]
	v_fma_f64 v[76:77], v[196:197], s[0:1], -v[76:77]
	v_fma_f64 v[78:79], v[36:37], s[8:9], -v[78:79]
	v_fmac_f64_e32 v[16:17], s[18:19], v[74:75]
	v_fma_f64 v[8:9], v[8:9], s[14:15], -v[22:23]
	v_add_f64 v[230:231], v[98:99], v[200:201]
	v_add_f64 v[242:243], v[98:99], -v[200:201]
	v_add_f64 v[172:173], v[6:7], v[4:5]
	v_add_f64 v[176:177], v[18:19], v[20:21]
	;; [unrolled: 1-line block ×10, first 2 shown]
	v_add_f64 v[192:193], v[6:7], -v[4:5]
	v_add_f64 v[196:197], v[18:19], -v[20:21]
	;; [unrolled: 1-line block ×10, first 2 shown]
	ds_write_b128 v30, v[212:215]
	ds_write_b128 v30, v[216:219] offset:2560
	ds_write_b128 v30, v[228:231] offset:5120
	;; [unrolled: 1-line block ×9, first 2 shown]
	s_and_saveexec_b64 s[0:1], vcc
	s_cbranch_execz .LBB0_11
; %bb.10:
	ds_write_b128 v30, v[172:175] offset:1600
	ds_write_b128 v30, v[176:179] offset:4160
	;; [unrolled: 1-line block ×10, first 2 shown]
.LBB0_11:
	s_or_b64 exec, exec, s[0:1]
	s_add_u32 s2, s16, 0x6400
	s_addc_u32 s3, s17, 0
	v_lshlrev_b32_e32 v16, 4, v2
	s_waitcnt lgkmcnt(0)
	s_barrier
	global_load_dwordx4 v[8:11], v16, s[2:3]
	ds_read_b128 v[4:7], v30
	ds_read_b128 v[212:215], v30 offset:23040
	v_mov_b32_e32 v17, 0
	v_lshl_add_u64 v[0:1], s[2:3], 0, v[16:17]
	s_movk_i32 s0, 0x1000
	s_waitcnt vmcnt(0) lgkmcnt(1)
	v_mul_f64 v[12:13], v[6:7], v[10:11]
	v_mul_f64 v[14:15], v[4:5], v[10:11]
	v_fma_f64 v[12:13], v[4:5], v[8:9], -v[12:13]
	v_fmac_f64_e32 v[14:15], v[6:7], v[8:9]
	global_load_dwordx4 v[8:11], v16, s[2:3] offset:2560
	ds_read_b128 v[4:7], v30 offset:2560
	ds_write_b128 v30, v[12:15]
	s_waitcnt vmcnt(0) lgkmcnt(1)
	v_mul_f64 v[14:15], v[4:5], v[10:11]
	v_mul_f64 v[12:13], v[6:7], v[10:11]
	v_fmac_f64_e32 v[14:15], v[6:7], v[8:9]
	v_add_co_u32_e64 v6, s[0:1], s0, v0
	v_fma_f64 v[12:13], v[4:5], v[8:9], -v[12:13]
	s_nop 0
	v_addc_co_u32_e64 v7, s[0:1], 0, v1, s[0:1]
	ds_write_b128 v30, v[12:15] offset:2560
	global_load_dwordx4 v[12:15], v[6:7], off offset:1024
	ds_read_b128 v[8:11], v30 offset:5120
	s_movk_i32 s0, 0x3000
	s_waitcnt vmcnt(0) lgkmcnt(0)
	v_mul_f64 v[4:5], v[10:11], v[14:15]
	v_mul_f64 v[18:19], v[8:9], v[14:15]
	v_fma_f64 v[16:17], v[8:9], v[12:13], -v[4:5]
	v_fmac_f64_e32 v[18:19], v[10:11], v[12:13]
	global_load_dwordx4 v[12:15], v[6:7], off offset:3584
	ds_read_b128 v[8:11], v30 offset:7680
	ds_write_b128 v30, v[16:19] offset:5120
	s_waitcnt vmcnt(0) lgkmcnt(1)
	v_mul_f64 v[4:5], v[10:11], v[14:15]
	v_mul_f64 v[18:19], v[8:9], v[14:15]
	v_fma_f64 v[16:17], v[8:9], v[12:13], -v[4:5]
	v_fmac_f64_e32 v[18:19], v[10:11], v[12:13]
	global_load_dwordx4 v[12:15], v28, s[2:3]
	ds_read_b128 v[8:11], v30 offset:10240
	ds_write_b128 v30, v[16:19] offset:7680
	s_waitcnt vmcnt(0) lgkmcnt(1)
	v_mul_f64 v[4:5], v[10:11], v[14:15]
	v_fma_f64 v[16:17], v[8:9], v[12:13], -v[4:5]
	v_add_co_u32_e64 v4, s[0:1], s0, v0
	v_mul_f64 v[18:19], v[8:9], v[14:15]
	s_nop 0
	v_addc_co_u32_e64 v5, s[0:1], 0, v1, s[0:1]
	v_fmac_f64_e32 v[18:19], v[10:11], v[12:13]
	global_load_dwordx4 v[12:15], v[4:5], off offset:512
	ds_read_b128 v[8:11], v30 offset:12800
	ds_write_b128 v30, v[16:19] offset:10240
	s_movk_i32 s0, 0x4000
	v_add_co_u32_e64 v216, s[0:1], s0, v0
	s_waitcnt vmcnt(0) lgkmcnt(1)
	v_mul_f64 v[16:17], v[10:11], v[14:15]
	v_mul_f64 v[18:19], v[8:9], v[14:15]
	v_fma_f64 v[16:17], v[8:9], v[12:13], -v[16:17]
	v_fmac_f64_e32 v[18:19], v[10:11], v[12:13]
	global_load_dwordx4 v[12:15], v[4:5], off offset:3072
	ds_read_b128 v[8:11], v30 offset:15360
	ds_write_b128 v30, v[16:19] offset:12800
	v_addc_co_u32_e64 v217, s[0:1], 0, v1, s[0:1]
	s_movk_i32 s0, 0x5000
	s_waitcnt vmcnt(0) lgkmcnt(1)
	v_mul_f64 v[16:17], v[10:11], v[14:15]
	v_mul_f64 v[18:19], v[8:9], v[14:15]
	v_fma_f64 v[16:17], v[8:9], v[12:13], -v[16:17]
	v_fmac_f64_e32 v[18:19], v[10:11], v[12:13]
	global_load_dwordx4 v[12:15], v[216:217], off offset:1536
	ds_read_b128 v[8:11], v30 offset:17920
	ds_write_b128 v30, v[16:19] offset:15360
	s_waitcnt vmcnt(0) lgkmcnt(1)
	v_mul_f64 v[16:17], v[10:11], v[14:15]
	v_mul_f64 v[18:19], v[8:9], v[14:15]
	v_fma_f64 v[16:17], v[8:9], v[12:13], -v[16:17]
	v_fmac_f64_e32 v[18:19], v[10:11], v[12:13]
	global_load_dwordx4 v[12:15], v29, s[2:3]
	ds_read_b128 v[8:11], v30 offset:20480
	ds_write_b128 v30, v[16:19] offset:17920
	s_waitcnt vmcnt(0) lgkmcnt(1)
	v_mul_f64 v[16:17], v[10:11], v[14:15]
	v_fma_f64 v[16:17], v[8:9], v[12:13], -v[16:17]
	v_mul_f64 v[18:19], v[8:9], v[14:15]
	v_add_co_u32_e64 v8, s[0:1], s0, v0
	v_fmac_f64_e32 v[18:19], v[10:11], v[12:13]
	s_nop 0
	v_addc_co_u32_e64 v9, s[0:1], 0, v1, s[0:1]
	global_load_dwordx4 v[10:13], v[8:9], off offset:2560
	ds_write_b128 v30, v[16:19] offset:20480
	s_waitcnt vmcnt(0)
	v_mul_f64 v[14:15], v[214:215], v[12:13]
	v_mul_f64 v[16:17], v[212:213], v[12:13]
	v_fma_f64 v[14:15], v[212:213], v[10:11], -v[14:15]
	v_fmac_f64_e32 v[16:17], v[214:215], v[10:11]
	ds_write_b128 v30, v[14:17] offset:23040
	s_and_saveexec_b64 s[2:3], vcc
	s_cbranch_execz .LBB0_13
; %bb.12:
	global_load_dwordx4 v[14:17], v[0:1], off offset:1600
	ds_read_b128 v[10:13], v30 offset:1600
	ds_read_b128 v[212:215], v30 offset:24640
	s_movk_i32 s0, 0x2000
	s_waitcnt vmcnt(0) lgkmcnt(1)
	v_mul_f64 v[18:19], v[12:13], v[16:17]
	v_mul_f64 v[20:21], v[10:11], v[16:17]
	v_fma_f64 v[18:19], v[10:11], v[14:15], -v[18:19]
	v_fmac_f64_e32 v[20:21], v[12:13], v[14:15]
	global_load_dwordx4 v[14:17], v[6:7], off offset:64
	ds_read_b128 v[10:13], v30 offset:4160
	ds_write_b128 v30, v[18:21] offset:1600
	s_waitcnt vmcnt(0) lgkmcnt(1)
	v_mul_f64 v[18:19], v[12:13], v[16:17]
	v_mul_f64 v[20:21], v[10:11], v[16:17]
	v_fma_f64 v[18:19], v[10:11], v[14:15], -v[18:19]
	v_fmac_f64_e32 v[20:21], v[12:13], v[14:15]
	global_load_dwordx4 v[14:17], v[6:7], off offset:2624
	ds_read_b128 v[10:13], v30 offset:6720
	ds_write_b128 v30, v[18:21] offset:4160
	s_waitcnt vmcnt(0) lgkmcnt(1)
	v_mul_f64 v[6:7], v[12:13], v[16:17]
	v_fma_f64 v[18:19], v[10:11], v[14:15], -v[6:7]
	v_add_co_u32_e64 v6, s[0:1], s0, v0
	v_mul_f64 v[20:21], v[10:11], v[16:17]
	s_nop 0
	v_addc_co_u32_e64 v7, s[0:1], 0, v1, s[0:1]
	v_fmac_f64_e32 v[20:21], v[12:13], v[14:15]
	global_load_dwordx4 v[14:17], v[6:7], off offset:1088
	ds_read_b128 v[10:13], v30 offset:9280
	ds_write_b128 v30, v[18:21] offset:6720
	s_movk_i32 s0, 0x6000
	v_add_co_u32_e64 v0, s[0:1], s0, v0
	s_waitcnt vmcnt(0) lgkmcnt(1)
	v_mul_f64 v[18:19], v[12:13], v[16:17]
	v_mul_f64 v[20:21], v[10:11], v[16:17]
	v_fma_f64 v[18:19], v[10:11], v[14:15], -v[18:19]
	v_fmac_f64_e32 v[20:21], v[12:13], v[14:15]
	global_load_dwordx4 v[14:17], v[6:7], off offset:3648
	ds_read_b128 v[10:13], v30 offset:11840
	ds_write_b128 v30, v[18:21] offset:9280
	v_addc_co_u32_e64 v1, s[0:1], 0, v1, s[0:1]
	s_waitcnt vmcnt(0) lgkmcnt(1)
	v_mul_f64 v[6:7], v[12:13], v[16:17]
	v_fma_f64 v[18:19], v[10:11], v[14:15], -v[6:7]
	global_load_dwordx4 v[4:7], v[4:5], off offset:2112
	v_mul_f64 v[20:21], v[10:11], v[16:17]
	v_fmac_f64_e32 v[20:21], v[12:13], v[14:15]
	ds_read_b128 v[10:13], v30 offset:14400
	ds_write_b128 v30, v[18:21] offset:11840
	s_waitcnt vmcnt(0) lgkmcnt(1)
	v_mul_f64 v[14:15], v[12:13], v[6:7]
	v_mul_f64 v[16:17], v[10:11], v[6:7]
	v_fma_f64 v[14:15], v[10:11], v[4:5], -v[14:15]
	v_fmac_f64_e32 v[16:17], v[12:13], v[4:5]
	global_load_dwordx4 v[10:13], v[216:217], off offset:576
	ds_read_b128 v[4:7], v30 offset:16960
	ds_write_b128 v30, v[14:17] offset:14400
	s_waitcnt vmcnt(0) lgkmcnt(1)
	v_mul_f64 v[14:15], v[6:7], v[12:13]
	v_mul_f64 v[16:17], v[4:5], v[12:13]
	v_fma_f64 v[14:15], v[4:5], v[10:11], -v[14:15]
	v_fmac_f64_e32 v[16:17], v[6:7], v[10:11]
	global_load_dwordx4 v[10:13], v[216:217], off offset:3136
	;; [unrolled: 8-line block ×4, first 2 shown]
	ds_write_b128 v30, v[12:15] offset:22080
	s_waitcnt vmcnt(0)
	v_mul_f64 v[0:1], v[214:215], v[6:7]
	v_mul_f64 v[10:11], v[212:213], v[6:7]
	v_fma_f64 v[8:9], v[212:213], v[4:5], -v[0:1]
	v_fmac_f64_e32 v[10:11], v[214:215], v[4:5]
	ds_write_b128 v30, v[8:11] offset:24640
.LBB0_13:
	s_or_b64 exec, exec, s[2:3]
	s_waitcnt lgkmcnt(0)
	s_barrier
	ds_read_b128 v[212:215], v30
	ds_read_b128 v[216:219], v30 offset:2560
	ds_read_b128 v[236:239], v30 offset:5120
	;; [unrolled: 1-line block ×9, first 2 shown]
	s_and_saveexec_b64 s[0:1], vcc
	s_cbranch_execz .LBB0_15
; %bb.14:
	ds_read_b128 v[172:175], v30 offset:1600
	ds_read_b128 v[176:179], v30 offset:4160
	;; [unrolled: 1-line block ×10, first 2 shown]
.LBB0_15:
	s_or_b64 exec, exec, s[0:1]
	s_waitcnt lgkmcnt(3)
	v_add_f64 v[4:5], v[240:241], v[244:245]
	s_mov_b32 s0, 0x134454ff
	v_fma_f64 v[4:5], -0.5, v[4:5], v[212:213]
	s_waitcnt lgkmcnt(1)
	v_add_f64 v[6:7], v[238:239], -v[250:251]
	s_mov_b32 s1, 0xbfee6f0e
	s_mov_b32 s2, 0x4755a5e
	;; [unrolled: 1-line block ×4, first 2 shown]
	v_fma_f64 v[8:9], s[0:1], v[6:7], v[4:5]
	v_add_f64 v[10:11], v[242:243], -v[246:247]
	s_mov_b32 s3, 0xbfe2cf23
	v_add_f64 v[12:13], v[236:237], -v[240:241]
	v_add_f64 v[14:15], v[248:249], -v[244:245]
	s_mov_b32 s8, 0x372fe950
	v_fmac_f64_e32 v[4:5], s[12:13], v[6:7]
	s_mov_b32 s15, 0x3fe2cf23
	s_mov_b32 s14, s2
	v_fmac_f64_e32 v[8:9], s[2:3], v[10:11]
	v_add_f64 v[12:13], v[12:13], v[14:15]
	s_mov_b32 s9, 0x3fd3c6ef
	v_fmac_f64_e32 v[4:5], s[14:15], v[10:11]
	v_fmac_f64_e32 v[8:9], s[8:9], v[12:13]
	;; [unrolled: 1-line block ×3, first 2 shown]
	v_add_f64 v[12:13], v[236:237], v[248:249]
	v_add_f64 v[0:1], v[212:213], v[236:237]
	v_fmac_f64_e32 v[212:213], -0.5, v[12:13]
	v_fma_f64 v[12:13], s[12:13], v[10:11], v[212:213]
	v_add_f64 v[14:15], v[240:241], -v[236:237]
	v_add_f64 v[16:17], v[244:245], -v[248:249]
	v_fmac_f64_e32 v[212:213], s[0:1], v[10:11]
	v_fmac_f64_e32 v[12:13], s[2:3], v[6:7]
	v_add_f64 v[14:15], v[14:15], v[16:17]
	v_fmac_f64_e32 v[212:213], s[14:15], v[6:7]
	v_add_f64 v[10:11], v[242:243], v[246:247]
	v_fmac_f64_e32 v[12:13], s[8:9], v[14:15]
	v_fmac_f64_e32 v[212:213], s[8:9], v[14:15]
	v_fma_f64 v[10:11], -0.5, v[10:11], v[214:215]
	v_add_f64 v[14:15], v[236:237], -v[248:249]
	v_fma_f64 v[16:17], s[12:13], v[14:15], v[10:11]
	v_add_f64 v[18:19], v[240:241], -v[244:245]
	v_add_f64 v[20:21], v[238:239], -v[242:243]
	;; [unrolled: 1-line block ×3, first 2 shown]
	v_fmac_f64_e32 v[10:11], s[0:1], v[14:15]
	v_fmac_f64_e32 v[16:17], s[14:15], v[18:19]
	v_add_f64 v[20:21], v[20:21], v[22:23]
	v_fmac_f64_e32 v[10:11], s[2:3], v[18:19]
	v_fmac_f64_e32 v[16:17], s[8:9], v[20:21]
	;; [unrolled: 1-line block ×3, first 2 shown]
	v_add_f64 v[20:21], v[238:239], v[250:251]
	v_add_f64 v[6:7], v[214:215], v[238:239]
	v_fmac_f64_e32 v[214:215], -0.5, v[20:21]
	v_fma_f64 v[20:21], s[0:1], v[18:19], v[214:215]
	v_add_f64 v[22:23], v[242:243], -v[238:239]
	v_add_f64 v[24:25], v[246:247], -v[250:251]
	v_fmac_f64_e32 v[214:215], s[12:13], v[18:19]
	v_fmac_f64_e32 v[20:21], s[14:15], v[14:15]
	v_add_f64 v[22:23], v[22:23], v[24:25]
	v_fmac_f64_e32 v[214:215], s[2:3], v[14:15]
	v_add_f64 v[18:19], v[224:225], v[228:229]
	v_fmac_f64_e32 v[20:21], s[8:9], v[22:23]
	v_fmac_f64_e32 v[214:215], s[8:9], v[22:23]
	v_fma_f64 v[18:19], -0.5, v[18:19], v[216:217]
	s_waitcnt lgkmcnt(0)
	v_add_f64 v[22:23], v[222:223], -v[234:235]
	v_fma_f64 v[24:25], s[0:1], v[22:23], v[18:19]
	v_add_f64 v[26:27], v[226:227], -v[230:231]
	v_add_f64 v[28:29], v[220:221], -v[224:225]
	;; [unrolled: 1-line block ×3, first 2 shown]
	v_fmac_f64_e32 v[18:19], s[12:13], v[22:23]
	v_fmac_f64_e32 v[24:25], s[2:3], v[26:27]
	v_add_f64 v[28:29], v[28:29], v[32:33]
	v_fmac_f64_e32 v[18:19], s[14:15], v[26:27]
	v_fmac_f64_e32 v[24:25], s[8:9], v[28:29]
	;; [unrolled: 1-line block ×3, first 2 shown]
	v_add_f64 v[28:29], v[220:221], v[232:233]
	v_add_f64 v[14:15], v[216:217], v[220:221]
	v_fmac_f64_e32 v[216:217], -0.5, v[28:29]
	v_fma_f64 v[28:29], s[12:13], v[26:27], v[216:217]
	v_add_f64 v[32:33], v[224:225], -v[220:221]
	v_add_f64 v[34:35], v[228:229], -v[232:233]
	v_fmac_f64_e32 v[216:217], s[0:1], v[26:27]
	v_fmac_f64_e32 v[28:29], s[2:3], v[22:23]
	v_add_f64 v[32:33], v[32:33], v[34:35]
	v_fmac_f64_e32 v[216:217], s[14:15], v[22:23]
	v_add_f64 v[26:27], v[226:227], v[230:231]
	v_fmac_f64_e32 v[28:29], s[8:9], v[32:33]
	v_fmac_f64_e32 v[216:217], s[8:9], v[32:33]
	v_fma_f64 v[26:27], -0.5, v[26:27], v[218:219]
	v_add_f64 v[32:33], v[220:221], -v[232:233]
	v_fma_f64 v[34:35], s[12:13], v[32:33], v[26:27]
	v_add_f64 v[36:37], v[224:225], -v[228:229]
	v_add_f64 v[38:39], v[222:223], -v[226:227]
	;; [unrolled: 1-line block ×3, first 2 shown]
	v_fmac_f64_e32 v[26:27], s[0:1], v[32:33]
	v_fmac_f64_e32 v[34:35], s[14:15], v[36:37]
	v_add_f64 v[38:39], v[38:39], v[72:73]
	v_fmac_f64_e32 v[26:27], s[2:3], v[36:37]
	v_fmac_f64_e32 v[34:35], s[8:9], v[38:39]
	;; [unrolled: 1-line block ×3, first 2 shown]
	v_add_f64 v[38:39], v[222:223], v[234:235]
	v_add_f64 v[22:23], v[218:219], v[222:223]
	v_fmac_f64_e32 v[218:219], -0.5, v[38:39]
	v_fma_f64 v[38:39], s[0:1], v[36:37], v[218:219]
	v_add_f64 v[72:73], v[226:227], -v[222:223]
	v_add_f64 v[74:75], v[230:231], -v[234:235]
	v_fmac_f64_e32 v[218:219], s[12:13], v[36:37]
	v_add_f64 v[0:1], v[0:1], v[240:241]
	v_add_f64 v[14:15], v[14:15], v[224:225]
	v_fmac_f64_e32 v[38:39], s[14:15], v[32:33]
	v_add_f64 v[72:73], v[72:73], v[74:75]
	v_fmac_f64_e32 v[218:219], s[2:3], v[32:33]
	s_mov_b32 s16, 0x9b97f4a8
	v_add_f64 v[0:1], v[0:1], v[244:245]
	v_add_f64 v[14:15], v[14:15], v[228:229]
	v_fmac_f64_e32 v[38:39], s[8:9], v[72:73]
	v_fmac_f64_e32 v[218:219], s[8:9], v[72:73]
	s_mov_b32 s17, 0x3fe9e377
	s_mov_b32 s21, 0xbfe9e377
	;; [unrolled: 1-line block ×3, first 2 shown]
	v_add_f64 v[0:1], v[0:1], v[248:249]
	v_add_f64 v[6:7], v[6:7], v[242:243]
	;; [unrolled: 1-line block ×4, first 2 shown]
	v_mul_f64 v[74:75], v[218:219], s[0:1]
	s_mov_b32 s19, 0xbfd3c6ef
	s_mov_b32 s18, s8
	v_mul_f64 v[78:79], v[26:27], s[2:3]
	v_mul_f64 v[98:99], v[38:39], s[8:9]
	;; [unrolled: 1-line block ×3, first 2 shown]
	v_add_f64 v[6:7], v[6:7], v[246:247]
	v_add_f64 v[22:23], v[22:23], v[230:231]
	;; [unrolled: 1-line block ×3, first 2 shown]
	v_mul_f64 v[36:37], v[34:35], s[2:3]
	v_mul_f64 v[72:73], v[38:39], s[0:1]
	v_fmac_f64_e32 v[74:75], s[18:19], v[216:217]
	v_fmac_f64_e32 v[78:79], s[20:21], v[18:19]
	;; [unrolled: 1-line block ×4, first 2 shown]
	v_add_f64 v[32:33], v[0:1], -v[14:15]
	v_add_f64 v[0:1], v[196:197], v[188:189]
	v_add_f64 v[6:7], v[6:7], v[250:251]
	;; [unrolled: 1-line block ×3, first 2 shown]
	v_fmac_f64_e32 v[36:37], s[16:17], v[24:25]
	v_fmac_f64_e32 v[72:73], s[8:9], v[28:29]
	v_add_f64 v[240:241], v[212:213], v[74:75]
	v_add_f64 v[244:245], v[4:5], v[78:79]
	v_mul_f64 v[24:25], v[24:25], s[14:15]
	v_add_f64 v[238:239], v[20:21], v[98:99]
	v_add_f64 v[246:247], v[10:11], v[26:27]
	v_add_f64 v[76:77], v[212:213], -v[74:75]
	v_add_f64 v[96:97], v[4:5], -v[78:79]
	;; [unrolled: 1-line block ×4, first 2 shown]
	v_fma_f64 v[4:5], -0.5, v[0:1], v[172:173]
	v_add_f64 v[10:11], v[182:183], -v[206:207]
	v_add_f64 v[232:233], v[8:9], v[36:37]
	v_add_f64 v[236:237], v[12:13], v[72:73]
	v_add_f64 v[230:231], v[6:7], v[22:23]
	v_fmac_f64_e32 v[24:25], s[16:17], v[34:35]
	v_add_f64 v[36:37], v[8:9], -v[36:37]
	v_add_f64 v[72:73], v[12:13], -v[72:73]
	v_add_f64 v[34:35], v[6:7], -v[22:23]
	v_fma_f64 v[0:1], s[0:1], v[10:11], v[4:5]
	v_add_f64 v[12:13], v[190:191], -v[198:199]
	v_add_f64 v[6:7], v[180:181], -v[188:189]
	;; [unrolled: 1-line block ×3, first 2 shown]
	v_fmac_f64_e32 v[4:5], s[12:13], v[10:11]
	v_fmac_f64_e32 v[0:1], s[2:3], v[12:13]
	v_add_f64 v[6:7], v[8:9], v[6:7]
	v_fmac_f64_e32 v[4:5], s[14:15], v[12:13]
	v_fmac_f64_e32 v[0:1], s[8:9], v[6:7]
	;; [unrolled: 1-line block ×3, first 2 shown]
	v_add_f64 v[6:7], v[204:205], v[180:181]
	v_fma_f64 v[8:9], -0.5, v[6:7], v[172:173]
	v_fma_f64 v[6:7], s[12:13], v[12:13], v[8:9]
	v_fmac_f64_e32 v[8:9], s[0:1], v[12:13]
	v_add_f64 v[234:235], v[16:17], v[24:25]
	v_add_f64 v[38:39], v[16:17], -v[24:25]
	v_fmac_f64_e32 v[6:7], s[2:3], v[10:11]
	v_add_f64 v[14:15], v[188:189], -v[180:181]
	v_add_f64 v[16:17], v[196:197], -v[204:205]
	v_fmac_f64_e32 v[8:9], s[14:15], v[10:11]
	v_add_f64 v[10:11], v[198:199], v[190:191]
	v_add_f64 v[14:15], v[16:17], v[14:15]
	v_fma_f64 v[12:13], -0.5, v[10:11], v[174:175]
	v_add_f64 v[18:19], v[180:181], -v[204:205]
	v_fmac_f64_e32 v[6:7], s[8:9], v[14:15]
	v_fmac_f64_e32 v[8:9], s[8:9], v[14:15]
	v_fma_f64 v[10:11], s[12:13], v[18:19], v[12:13]
	v_add_f64 v[20:21], v[188:189], -v[196:197]
	v_add_f64 v[14:15], v[182:183], -v[190:191]
	;; [unrolled: 1-line block ×3, first 2 shown]
	v_fmac_f64_e32 v[12:13], s[0:1], v[18:19]
	v_fmac_f64_e32 v[10:11], s[14:15], v[20:21]
	v_add_f64 v[14:15], v[16:17], v[14:15]
	v_fmac_f64_e32 v[12:13], s[2:3], v[20:21]
	v_fmac_f64_e32 v[10:11], s[8:9], v[14:15]
	;; [unrolled: 1-line block ×3, first 2 shown]
	v_add_f64 v[14:15], v[206:207], v[182:183]
	v_fma_f64 v[16:17], -0.5, v[14:15], v[174:175]
	v_fma_f64 v[14:15], s[0:1], v[20:21], v[16:17]
	v_fmac_f64_e32 v[16:17], s[12:13], v[20:21]
	v_mul_f64 v[28:29], v[218:219], s[18:19]
	v_fmac_f64_e32 v[14:15], s[14:15], v[18:19]
	v_add_f64 v[22:23], v[190:191], -v[182:183]
	v_add_f64 v[24:25], v[198:199], -v[206:207]
	v_fmac_f64_e32 v[16:17], s[2:3], v[18:19]
	v_add_f64 v[18:19], v[192:193], v[200:201]
	v_fmac_f64_e32 v[28:29], s[12:13], v[216:217]
	v_add_f64 v[22:23], v[24:25], v[22:23]
	v_fma_f64 v[212:213], -0.5, v[18:19], v[176:177]
	v_add_f64 v[18:19], v[186:187], -v[210:211]
	v_add_f64 v[242:243], v[214:215], v[28:29]
	v_add_f64 v[78:79], v[214:215], -v[28:29]
	v_fmac_f64_e32 v[14:15], s[8:9], v[22:23]
	v_fmac_f64_e32 v[16:17], s[8:9], v[22:23]
	v_fma_f64 v[28:29], s[0:1], v[18:19], v[212:213]
	v_add_f64 v[20:21], v[194:195], -v[202:203]
	v_add_f64 v[22:23], v[184:185], -v[192:193]
	;; [unrolled: 1-line block ×3, first 2 shown]
	v_fmac_f64_e32 v[212:213], s[12:13], v[18:19]
	v_fmac_f64_e32 v[28:29], s[2:3], v[20:21]
	v_add_f64 v[22:23], v[24:25], v[22:23]
	v_fmac_f64_e32 v[212:213], s[14:15], v[20:21]
	v_fmac_f64_e32 v[28:29], s[8:9], v[22:23]
	;; [unrolled: 1-line block ×3, first 2 shown]
	v_add_f64 v[22:23], v[208:209], v[184:185]
	v_fma_f64 v[214:215], -0.5, v[22:23], v[176:177]
	v_fma_f64 v[216:217], s[12:13], v[20:21], v[214:215]
	v_fmac_f64_e32 v[214:215], s[0:1], v[20:21]
	v_fmac_f64_e32 v[216:217], s[2:3], v[18:19]
	v_add_f64 v[22:23], v[192:193], -v[184:185]
	v_add_f64 v[24:25], v[200:201], -v[208:209]
	v_fmac_f64_e32 v[214:215], s[14:15], v[18:19]
	v_add_f64 v[18:19], v[194:195], v[202:203]
	v_add_f64 v[22:23], v[24:25], v[22:23]
	v_fma_f64 v[218:219], -0.5, v[18:19], v[178:179]
	v_add_f64 v[18:19], v[184:185], -v[208:209]
	v_fmac_f64_e32 v[216:217], s[8:9], v[22:23]
	v_fmac_f64_e32 v[214:215], s[8:9], v[22:23]
	v_fma_f64 v[26:27], s[12:13], v[18:19], v[218:219]
	v_add_f64 v[20:21], v[192:193], -v[200:201]
	v_add_f64 v[22:23], v[186:187], -v[194:195]
	v_add_f64 v[24:25], v[210:211], -v[202:203]
	v_fmac_f64_e32 v[218:219], s[0:1], v[18:19]
	v_fmac_f64_e32 v[26:27], s[14:15], v[20:21]
	v_add_f64 v[22:23], v[24:25], v[22:23]
	v_fmac_f64_e32 v[218:219], s[2:3], v[20:21]
	v_fmac_f64_e32 v[26:27], s[8:9], v[22:23]
	;; [unrolled: 1-line block ×3, first 2 shown]
	v_add_f64 v[22:23], v[210:211], v[186:187]
	v_fma_f64 v[220:221], -0.5, v[22:23], v[178:179]
	v_fma_f64 v[222:223], s[0:1], v[20:21], v[220:221]
	v_add_f64 v[22:23], v[194:195], -v[186:187]
	v_add_f64 v[24:25], v[202:203], -v[210:211]
	v_fmac_f64_e32 v[220:221], s[12:13], v[20:21]
	v_fmac_f64_e32 v[222:223], s[14:15], v[18:19]
	v_add_f64 v[22:23], v[24:25], v[22:23]
	v_fmac_f64_e32 v[220:221], s[2:3], v[18:19]
	v_fmac_f64_e32 v[222:223], s[8:9], v[22:23]
	;; [unrolled: 1-line block ×3, first 2 shown]
	v_mul_f64 v[18:19], v[26:27], s[2:3]
	v_mul_f64 v[26:27], v[26:27], s[16:17]
	v_fmac_f64_e32 v[18:19], s[16:17], v[28:29]
	v_mul_f64 v[20:21], v[222:223], s[0:1]
	v_mul_f64 v[22:23], v[220:221], s[0:1]
	;; [unrolled: 1-line block ×3, first 2 shown]
	v_fmac_f64_e32 v[26:27], s[14:15], v[28:29]
	v_mul_f64 v[248:249], v[222:223], s[8:9]
	v_mul_f64 v[250:251], v[220:221], s[18:19]
	;; [unrolled: 1-line block ×3, first 2 shown]
	v_fmac_f64_e32 v[20:21], s[8:9], v[216:217]
	v_fmac_f64_e32 v[22:23], s[18:19], v[214:215]
	;; [unrolled: 1-line block ×6, first 2 shown]
	v_add_f64 v[216:217], v[0:1], -v[18:19]
	v_add_f64 v[212:213], v[6:7], -v[20:21]
	;; [unrolled: 1-line block ×8, first 2 shown]
	s_barrier
	ds_write_b128 v3, v[228:231]
	ds_write_b128 v3, v[232:235] offset:16
	ds_write_b128 v3, v[236:239] offset:32
	;; [unrolled: 1-line block ×9, first 2 shown]
	s_and_saveexec_b64 s[0:1], vcc
	s_cbranch_execz .LBB0_17
; %bb.16:
	v_add_f64 v[32:33], v[182:183], v[174:175]
	v_add_f64 v[32:33], v[190:191], v[32:33]
	;; [unrolled: 1-line block ×15, first 2 shown]
	v_add_f64 v[34:35], v[36:37], -v[72:73]
	v_add_f64 v[78:79], v[208:209], v[32:33]
	v_add_f64 v[74:75], v[72:73], v[36:37]
	;; [unrolled: 1-line block ×3, first 2 shown]
	v_accvgpr_read_b32 v0, a42
	v_add_f64 v[72:73], v[78:79], v[76:77]
	v_lshl_add_u32 v0, v0, 4, v31
	v_add_f64 v[32:33], v[76:77], -v[78:79]
	v_add_f64 v[12:13], v[12:13], v[28:29]
	v_add_f64 v[16:17], v[16:17], v[250:251]
	;; [unrolled: 1-line block ×7, first 2 shown]
	ds_write_b128 v0, v[72:75]
	ds_write_b128 v0, v[36:39] offset:16
	ds_write_b128 v0, v[26:29] offset:32
	;; [unrolled: 1-line block ×9, first 2 shown]
.LBB0_17:
	s_or_b64 exec, exec, s[0:1]
	s_waitcnt lgkmcnt(0)
	s_barrier
	ds_read_b128 v[4:7], v30
	ds_read_b128 v[8:11], v30 offset:1600
	ds_read_b128 v[12:15], v30 offset:3200
	;; [unrolled: 1-line block ×15, first 2 shown]
	s_waitcnt lgkmcnt(14)
	v_mul_f64 v[0:1], v[54:55], v[10:11]
	v_fmac_f64_e32 v[0:1], v[52:53], v[8:9]
	v_mul_f64 v[8:9], v[54:55], v[8:9]
	v_fma_f64 v[8:9], v[52:53], v[10:11], -v[8:9]
	s_waitcnt lgkmcnt(13)
	v_mul_f64 v[10:11], v[50:51], v[14:15]
	v_fmac_f64_e32 v[10:11], v[48:49], v[12:13]
	v_mul_f64 v[12:13], v[50:51], v[12:13]
	v_fma_f64 v[12:13], v[48:49], v[14:15], -v[12:13]
	;; [unrolled: 5-line block ×5, first 2 shown]
	s_waitcnt lgkmcnt(9)
	v_mul_f64 v[26:27], v[66:67], v[34:35]
	v_mul_f64 v[28:29], v[66:67], v[32:33]
	v_fmac_f64_e32 v[26:27], v[64:65], v[32:33]
	v_fma_f64 v[28:29], v[64:65], v[34:35], -v[28:29]
	s_waitcnt lgkmcnt(8)
	v_mul_f64 v[32:33], v[62:63], v[38:39]
	v_mul_f64 v[34:35], v[62:63], v[36:37]
	v_fmac_f64_e32 v[32:33], v[60:61], v[36:37]
	v_fma_f64 v[34:35], v[60:61], v[38:39], -v[34:35]
	;; [unrolled: 5-line block ×3, first 2 shown]
	s_waitcnt lgkmcnt(6)
	v_mul_f64 v[40:41], v[94:95], v[78:79]
	v_mul_f64 v[42:43], v[94:95], v[76:77]
	s_waitcnt lgkmcnt(5)
	v_mul_f64 v[44:45], v[90:91], v[98:99]
	v_mul_f64 v[46:47], v[90:91], v[96:97]
	;; [unrolled: 3-line block ×5, first 2 shown]
	s_waitcnt lgkmcnt(1)
	v_mul_f64 v[60:61], v[114:115], v[186:187]
	s_waitcnt lgkmcnt(0)
	v_mul_f64 v[64:65], v[110:111], v[190:191]
	v_mul_f64 v[66:67], v[110:111], v[188:189]
	v_fmac_f64_e32 v[40:41], v[92:93], v[76:77]
	v_fma_f64 v[42:43], v[92:93], v[78:79], -v[42:43]
	v_fmac_f64_e32 v[44:45], v[88:89], v[96:97]
	v_fma_f64 v[46:47], v[88:89], v[98:99], -v[46:47]
	;; [unrolled: 2-line block ×5, first 2 shown]
	v_fmac_f64_e32 v[60:61], v[112:113], v[184:185]
	v_mul_f64 v[62:63], v[114:115], v[184:185]
	v_fmac_f64_e32 v[64:65], v[108:109], v[188:189]
	v_fma_f64 v[66:67], v[108:109], v[190:191], -v[66:67]
	v_fma_f64 v[62:63], v[112:113], v[186:187], -v[62:63]
	v_add_f64 v[38:39], v[6:7], -v[38:39]
	v_add_f64 v[52:53], v[18:19], -v[52:53]
	;; [unrolled: 1-line block ×15, first 2 shown]
	v_fma_f64 v[6:7], v[6:7], 2.0, -v[38:39]
	v_fma_f64 v[18:19], v[18:19], 2.0, -v[52:53]
	v_fma_f64 v[20:21], v[20:21], 2.0, -v[54:55]
	v_fma_f64 v[10:11], v[10:11], 2.0, -v[44:45]
	v_add_f64 v[62:63], v[28:29], -v[62:63]
	v_fma_f64 v[26:27], v[26:27], 2.0, -v[60:61]
	v_fma_f64 v[0:1], v[0:1], 2.0, -v[40:41]
	;; [unrolled: 1-line block ×9, first 2 shown]
	v_add_f64 v[52:53], v[38:39], -v[52:53]
	v_add_f64 v[60:61], v[46:47], -v[60:61]
	;; [unrolled: 1-line block ×4, first 2 shown]
	s_mov_b32 s0, 0x667f3bcd
	v_fma_f64 v[4:5], v[4:5], 2.0, -v[36:37]
	v_fma_f64 v[12:13], v[12:13], 2.0, -v[46:47]
	;; [unrolled: 1-line block ×3, first 2 shown]
	v_add_f64 v[20:21], v[6:7], -v[20:21]
	v_add_f64 v[54:55], v[36:37], v[54:55]
	v_fma_f64 v[38:39], v[38:39], 2.0, -v[52:53]
	v_add_f64 v[26:27], v[10:11], -v[26:27]
	v_add_f64 v[62:63], v[44:45], v[62:63]
	v_fma_f64 v[46:47], v[46:47], 2.0, -v[60:61]
	v_add_f64 v[22:23], v[0:1], -v[22:23]
	v_add_f64 v[24:25], v[8:9], -v[24:25]
	v_add_f64 v[58:59], v[40:41], v[58:59]
	v_fma_f64 v[42:43], v[42:43], 2.0, -v[56:57]
	v_add_f64 v[32:33], v[14:15], -v[32:33]
	v_add_f64 v[34:35], v[16:17], -v[34:35]
	v_add_f64 v[66:67], v[48:49], v[66:67]
	v_fma_f64 v[50:51], v[50:51], 2.0, -v[64:65]
	s_mov_b32 s1, 0xbfe6a09e
	v_add_f64 v[18:19], v[4:5], -v[18:19]
	v_fma_f64 v[36:37], v[36:37], 2.0, -v[54:55]
	v_add_f64 v[28:29], v[12:13], -v[28:29]
	v_fma_f64 v[44:45], v[44:45], 2.0, -v[62:63]
	v_fma_f64 v[40:41], v[40:41], 2.0, -v[58:59]
	;; [unrolled: 1-line block ×3, first 2 shown]
	v_fma_f64 v[74:75], s[0:1], v[46:47], v[38:39]
	s_mov_b32 s3, 0x3fe6a09e
	s_mov_b32 s2, s0
	v_add_f64 v[76:77], v[20:21], -v[26:27]
	v_fma_f64 v[84:85], s[0:1], v[50:51], v[42:43]
	v_add_f64 v[86:87], v[22:23], v[34:35]
	v_add_f64 v[88:89], v[24:25], -v[32:33]
	v_fma_f64 v[6:7], v[6:7], 2.0, -v[20:21]
	v_fma_f64 v[12:13], v[12:13], 2.0, -v[28:29]
	;; [unrolled: 1-line block ×3, first 2 shown]
	v_fma_f64 v[72:73], s[0:1], v[44:45], v[36:37]
	v_fmac_f64_e32 v[74:75], s[0:1], v[44:45]
	v_add_f64 v[28:29], v[18:19], v[28:29]
	v_fma_f64 v[44:45], v[20:21], 2.0, -v[76:77]
	v_fma_f64 v[78:79], s[2:3], v[62:63], v[54:55]
	v_fma_f64 v[80:81], s[2:3], v[60:61], v[52:53]
	v_fma_f64 v[82:83], s[0:1], v[48:49], v[40:41]
	v_fmac_f64_e32 v[84:85], s[0:1], v[48:49]
	v_fma_f64 v[20:21], v[22:23], 2.0, -v[86:87]
	v_fma_f64 v[22:23], v[24:25], 2.0, -v[88:89]
	v_fma_f64 v[90:91], s[2:3], v[66:67], v[58:59]
	v_fma_f64 v[92:93], s[2:3], v[64:65], v[56:57]
	v_fma_f64 v[4:5], v[4:5], 2.0, -v[18:19]
	v_fma_f64 v[10:11], v[10:11], 2.0, -v[26:27]
	;; [unrolled: 1-line block ×5, first 2 shown]
	v_fmac_f64_e32 v[78:79], s[2:3], v[60:61]
	v_fmac_f64_e32 v[80:81], s[0:1], v[62:63]
	;; [unrolled: 1-line block ×3, first 2 shown]
	v_fma_f64 v[18:19], v[42:43], 2.0, -v[84:85]
	v_fmac_f64_e32 v[90:91], s[2:3], v[64:65]
	v_fmac_f64_e32 v[92:93], s[0:1], v[66:67]
	s_mov_b32 s8, 0xa6aea964
	v_fma_f64 v[42:43], s[0:1], v[22:23], v[44:45]
	v_fma_f64 v[14:15], v[14:15], 2.0, -v[32:33]
	v_fma_f64 v[54:55], v[54:55], 2.0, -v[78:79]
	;; [unrolled: 1-line block ×3, first 2 shown]
	v_add_f64 v[62:63], v[8:9], -v[16:17]
	v_fma_f64 v[16:17], v[40:41], 2.0, -v[82:83]
	v_fma_f64 v[24:25], v[58:59], 2.0, -v[90:91]
	;; [unrolled: 1-line block ×3, first 2 shown]
	s_mov_b32 s12, 0xcf328d46
	s_mov_b32 s9, 0x3fd87de2
	;; [unrolled: 1-line block ×4, first 2 shown]
	v_fma_f64 v[40:41], s[0:1], v[20:21], v[26:27]
	v_fmac_f64_e32 v[42:43], s[0:1], v[20:21]
	v_add_f64 v[68:69], v[4:5], -v[10:11]
	v_add_f64 v[70:71], v[6:7], -v[12:13]
	v_fmac_f64_e32 v[72:73], s[2:3], v[46:47]
	v_add_f64 v[60:61], v[0:1], -v[14:15]
	s_mov_b32 s13, 0xbfed906b
	v_fmac_f64_e32 v[40:41], s[2:3], v[22:23]
	v_fma_f64 v[22:23], v[44:45], 2.0, -v[42:43]
	v_fma_f64 v[44:45], s[14:15], v[24:25], v[54:55]
	v_fma_f64 v[46:47], s[14:15], v[32:33], v[52:53]
	s_mov_b32 s17, 0x3fed906b
	s_mov_b32 s16, s12
	v_fma_f64 v[10:11], v[4:5], 2.0, -v[68:69]
	v_fma_f64 v[12:13], v[6:7], 2.0, -v[70:71]
	;; [unrolled: 1-line block ×4, first 2 shown]
	v_fmac_f64_e32 v[44:45], s[16:17], v[32:33]
	v_fmac_f64_e32 v[46:47], s[12:13], v[24:25]
	v_fma_f64 v[36:37], v[36:37], 2.0, -v[72:73]
	v_fma_f64 v[38:39], v[38:39], 2.0, -v[74:75]
	v_add_f64 v[4:5], v[10:11], -v[0:1]
	v_add_f64 v[6:7], v[12:13], -v[6:7]
	v_fma_f64 v[20:21], v[26:27], 2.0, -v[40:41]
	v_fma_f64 v[24:25], v[54:55], 2.0, -v[44:45]
	;; [unrolled: 1-line block ×3, first 2 shown]
	v_add_f64 v[52:53], v[68:69], v[62:63]
	v_add_f64 v[54:55], v[70:71], -v[60:61]
	v_fma_f64 v[60:61], s[2:3], v[86:87], v[28:29]
	v_fma_f64 v[62:63], s[2:3], v[88:89], v[76:77]
	;; [unrolled: 1-line block ×4, first 2 shown]
	v_fma_f64 v[8:9], v[10:11], 2.0, -v[4:5]
	v_fma_f64 v[10:11], v[12:13], 2.0, -v[6:7]
	v_fma_f64 v[12:13], s[12:13], v[16:17], v[36:37]
	v_fma_f64 v[14:15], s[12:13], v[18:19], v[38:39]
	;; [unrolled: 1-line block ×4, first 2 shown]
	v_fmac_f64_e32 v[60:61], s[2:3], v[88:89]
	v_fmac_f64_e32 v[62:63], s[0:1], v[86:87]
	;; [unrolled: 1-line block ×6, first 2 shown]
	v_fma_f64 v[32:33], v[68:69], 2.0, -v[52:53]
	v_fma_f64 v[34:35], v[70:71], 2.0, -v[54:55]
	v_fmac_f64_e32 v[48:49], s[16:17], v[84:85]
	v_fmac_f64_e32 v[50:51], s[12:13], v[82:83]
	v_fma_f64 v[64:65], v[28:29], 2.0, -v[60:61]
	v_fma_f64 v[66:67], v[76:77], 2.0, -v[62:63]
	;; [unrolled: 1-line block ×8, first 2 shown]
	s_barrier
	ds_write_b128 v255, v[8:11]
	ds_write_b128 v255, v[16:19] offset:160
	ds_write_b128 v255, v[20:23] offset:320
	;; [unrolled: 1-line block ×15, first 2 shown]
	s_waitcnt lgkmcnt(0)
	s_barrier
	ds_read_b128 v[64:67], v30
	ds_read_b128 v[172:175], v30 offset:2560
	ds_read_b128 v[116:119], v30 offset:5120
	;; [unrolled: 1-line block ×9, first 2 shown]
	s_and_saveexec_b64 s[0:1], vcc
	s_cbranch_execz .LBB0_19
; %bb.18:
	ds_read_b128 v[40:43], v30 offset:1600
	ds_read_b128 v[44:47], v30 offset:4160
	;; [unrolled: 1-line block ×10, first 2 shown]
.LBB0_19:
	s_or_b64 exec, exec, s[0:1]
	s_waitcnt lgkmcnt(5)
	v_mul_f64 v[14:15], v[130:131], v[110:111]
	s_waitcnt lgkmcnt(3)
	v_mul_f64 v[22:23], v[154:155], v[90:91]
	v_mul_f64 v[8:9], v[142:143], v[116:117]
	v_fmac_f64_e32 v[14:15], v[128:129], v[108:109]
	v_fmac_f64_e32 v[22:23], v[152:153], v[88:89]
	s_waitcnt lgkmcnt(1)
	v_mul_f64 v[34:35], v[146:147], v[80:81]
	s_waitcnt lgkmcnt(0)
	v_mul_f64 v[38:39], v[170:171], v[68:69]
	v_mul_f64 v[6:7], v[142:143], v[118:119]
	v_fma_f64 v[8:9], v[140:141], v[118:119], -v[8:9]
	v_mul_f64 v[16:17], v[130:131], v[108:109]
	v_mul_f64 v[24:25], v[154:155], v[88:89]
	;; [unrolled: 1-line block ×3, first 2 shown]
	v_fma_f64 v[34:35], v[144:145], v[82:83], -v[34:35]
	v_mul_f64 v[36:37], v[170:171], v[70:71]
	v_fma_f64 v[38:39], v[168:169], v[70:71], -v[38:39]
	v_add_f64 v[70:71], v[14:15], v[22:23]
	s_mov_b32 s0, 0x134454ff
	v_fmac_f64_e32 v[6:7], v[140:141], v[116:117]
	v_fma_f64 v[16:17], v[128:129], v[110:111], -v[16:17]
	v_fma_f64 v[24:25], v[152:153], v[90:91], -v[24:25]
	v_fmac_f64_e32 v[32:33], v[144:145], v[80:81]
	v_fma_f64 v[70:71], -0.5, v[70:71], v[64:65]
	v_add_f64 v[72:73], v[8:9], -v[34:35]
	s_mov_b32 s1, 0xbfee6f0e
	s_mov_b32 s2, 0x4755a5e
	;; [unrolled: 1-line block ×4, first 2 shown]
	v_fma_f64 v[74:75], s[0:1], v[72:73], v[70:71]
	v_add_f64 v[76:77], v[16:17], -v[24:25]
	s_mov_b32 s3, 0xbfe2cf23
	v_add_f64 v[78:79], v[6:7], -v[14:15]
	v_add_f64 v[80:81], v[32:33], -v[22:23]
	s_mov_b32 s8, 0x372fe950
	v_fmac_f64_e32 v[70:71], s[12:13], v[72:73]
	s_mov_b32 s15, 0x3fe2cf23
	s_mov_b32 s14, s2
	v_fmac_f64_e32 v[74:75], s[2:3], v[76:77]
	v_add_f64 v[78:79], v[78:79], v[80:81]
	s_mov_b32 s9, 0x3fd3c6ef
	v_fmac_f64_e32 v[70:71], s[14:15], v[76:77]
	v_fmac_f64_e32 v[74:75], s[8:9], v[78:79]
	;; [unrolled: 1-line block ×3, first 2 shown]
	v_add_f64 v[78:79], v[6:7], v[32:33]
	v_fmac_f64_e32 v[36:37], v[168:169], v[68:69]
	v_add_f64 v[68:69], v[64:65], v[6:7]
	v_fmac_f64_e32 v[64:65], -0.5, v[78:79]
	v_add_f64 v[68:69], v[68:69], v[14:15]
	v_fma_f64 v[78:79], s[12:13], v[76:77], v[64:65]
	v_add_f64 v[80:81], v[14:15], -v[6:7]
	v_add_f64 v[82:83], v[22:23], -v[32:33]
	v_fmac_f64_e32 v[64:65], s[0:1], v[76:77]
	v_add_f64 v[76:77], v[16:17], v[24:25]
	v_add_f64 v[68:69], v[68:69], v[22:23]
	v_fmac_f64_e32 v[78:79], s[2:3], v[72:73]
	v_add_f64 v[80:81], v[80:81], v[82:83]
	v_fmac_f64_e32 v[64:65], s[14:15], v[72:73]
	v_fma_f64 v[76:77], -0.5, v[76:77], v[66:67]
	v_add_f64 v[6:7], v[6:7], -v[32:33]
	v_add_f64 v[68:69], v[68:69], v[32:33]
	v_fmac_f64_e32 v[78:79], s[8:9], v[80:81]
	v_fmac_f64_e32 v[64:65], s[8:9], v[80:81]
	v_fma_f64 v[80:81], s[12:13], v[6:7], v[76:77]
	v_add_f64 v[14:15], v[14:15], -v[22:23]
	v_add_f64 v[22:23], v[8:9], -v[16:17]
	;; [unrolled: 1-line block ×3, first 2 shown]
	v_fmac_f64_e32 v[76:77], s[0:1], v[6:7]
	v_fmac_f64_e32 v[80:81], s[14:15], v[14:15]
	v_add_f64 v[22:23], v[22:23], v[32:33]
	v_fmac_f64_e32 v[76:77], s[2:3], v[14:15]
	v_fmac_f64_e32 v[80:81], s[8:9], v[22:23]
	;; [unrolled: 1-line block ×3, first 2 shown]
	v_add_f64 v[22:23], v[8:9], v[34:35]
	v_mul_f64 v[0:1], v[158:159], v[174:175]
	v_mul_f64 v[10:11], v[134:135], v[114:115]
	v_add_f64 v[72:73], v[66:67], v[8:9]
	v_fmac_f64_e32 v[66:67], -0.5, v[22:23]
	v_fmac_f64_e32 v[0:1], v[156:157], v[172:173]
	v_fmac_f64_e32 v[10:11], v[132:133], v[112:113]
	v_mul_f64 v[18:19], v[166:167], v[94:95]
	v_fma_f64 v[82:83], s[0:1], v[14:15], v[66:67]
	v_fmac_f64_e32 v[66:67], s[12:13], v[14:15]
	v_fmac_f64_e32 v[18:19], v[164:165], v[92:93]
	v_mul_f64 v[26:27], v[150:151], v[86:87]
	v_fmac_f64_e32 v[82:83], s[14:15], v[6:7]
	v_fmac_f64_e32 v[66:67], s[2:3], v[6:7]
	v_add_f64 v[6:7], v[0:1], v[10:11]
	v_fmac_f64_e32 v[26:27], v[148:149], v[84:85]
	v_add_f64 v[6:7], v[6:7], v[18:19]
	v_mul_f64 v[12:13], v[134:135], v[112:113]
	v_add_f64 v[6:7], v[6:7], v[26:27]
	v_fma_f64 v[12:13], v[132:133], v[114:115], -v[12:13]
	v_mul_f64 v[20:21], v[166:167], v[92:93]
	v_mul_f64 v[28:29], v[150:151], v[84:85]
	v_add_f64 v[72:73], v[72:73], v[16:17]
	v_add_f64 v[8:9], v[16:17], -v[8:9]
	v_add_f64 v[16:17], v[24:25], -v[34:35]
	v_add_f64 v[32:33], v[6:7], v[36:37]
	v_add_f64 v[6:7], v[18:19], v[26:27]
	v_fma_f64 v[20:21], v[164:165], v[94:95], -v[20:21]
	v_fma_f64 v[28:29], v[148:149], v[86:87], -v[28:29]
	v_add_f64 v[72:73], v[72:73], v[24:25]
	v_add_f64 v[8:9], v[8:9], v[16:17]
	v_fma_f64 v[24:25], -0.5, v[6:7], v[0:1]
	v_add_f64 v[6:7], v[12:13], -v[38:39]
	v_fmac_f64_e32 v[82:83], s[8:9], v[8:9]
	v_fmac_f64_e32 v[66:67], s[8:9], v[8:9]
	v_fma_f64 v[16:17], s[0:1], v[6:7], v[24:25]
	v_add_f64 v[8:9], v[20:21], -v[28:29]
	v_add_f64 v[14:15], v[10:11], -v[18:19]
	;; [unrolled: 1-line block ×3, first 2 shown]
	v_fmac_f64_e32 v[24:25], s[12:13], v[6:7]
	v_fmac_f64_e32 v[16:17], s[2:3], v[8:9]
	v_add_f64 v[14:15], v[14:15], v[22:23]
	v_fmac_f64_e32 v[24:25], s[14:15], v[8:9]
	v_fmac_f64_e32 v[16:17], s[8:9], v[14:15]
	;; [unrolled: 1-line block ×3, first 2 shown]
	v_add_f64 v[14:15], v[10:11], v[36:37]
	v_mul_f64 v[4:5], v[158:159], v[172:173]
	v_fmac_f64_e32 v[0:1], -0.5, v[14:15]
	v_fma_f64 v[4:5], v[156:157], v[174:175], -v[4:5]
	v_add_f64 v[72:73], v[72:73], v[34:35]
	v_fma_f64 v[34:35], s[12:13], v[8:9], v[0:1]
	v_fmac_f64_e32 v[0:1], s[0:1], v[8:9]
	v_fmac_f64_e32 v[34:35], s[2:3], v[6:7]
	;; [unrolled: 1-line block ×3, first 2 shown]
	v_add_f64 v[6:7], v[4:5], v[12:13]
	v_add_f64 v[6:7], v[6:7], v[20:21]
	;; [unrolled: 1-line block ×3, first 2 shown]
	v_add_f64 v[14:15], v[18:19], -v[10:11]
	v_add_f64 v[22:23], v[26:27], -v[36:37]
	v_add_f64 v[84:85], v[6:7], v[38:39]
	v_add_f64 v[6:7], v[20:21], v[28:29]
	;; [unrolled: 1-line block ×3, first 2 shown]
	v_fma_f64 v[86:87], -0.5, v[6:7], v[4:5]
	v_add_f64 v[6:7], v[10:11], -v[36:37]
	v_fmac_f64_e32 v[34:35], s[8:9], v[14:15]
	v_fmac_f64_e32 v[0:1], s[8:9], v[14:15]
	v_fma_f64 v[36:37], s[12:13], v[6:7], v[86:87]
	v_add_f64 v[8:9], v[18:19], -v[26:27]
	v_add_f64 v[10:11], v[12:13], -v[20:21]
	;; [unrolled: 1-line block ×3, first 2 shown]
	v_fmac_f64_e32 v[86:87], s[0:1], v[6:7]
	v_fmac_f64_e32 v[36:37], s[14:15], v[8:9]
	v_add_f64 v[10:11], v[10:11], v[14:15]
	v_fmac_f64_e32 v[86:87], s[2:3], v[8:9]
	v_fmac_f64_e32 v[36:37], s[8:9], v[10:11]
	;; [unrolled: 1-line block ×3, first 2 shown]
	v_add_f64 v[10:11], v[12:13], v[38:39]
	v_fmac_f64_e32 v[4:5], -0.5, v[10:11]
	v_fma_f64 v[26:27], s[0:1], v[8:9], v[4:5]
	v_add_f64 v[10:11], v[20:21], -v[12:13]
	v_add_f64 v[12:13], v[28:29], -v[38:39]
	v_fmac_f64_e32 v[4:5], s[12:13], v[8:9]
	v_add_f64 v[10:11], v[10:11], v[12:13]
	v_fmac_f64_e32 v[4:5], s[2:3], v[6:7]
	v_fmac_f64_e32 v[26:27], s[14:15], v[6:7]
	;; [unrolled: 1-line block ×3, first 2 shown]
	s_mov_b32 s16, 0x9b97f4a8
	s_mov_b32 s18, s8
	v_fmac_f64_e32 v[26:27], s[8:9], v[10:11]
	s_mov_b32 s17, 0x3fe9e377
	v_mul_f64 v[88:89], v[4:5], s[0:1]
	s_mov_b32 s23, 0xbfe9e377
	s_mov_b32 s22, s16
	v_mul_f64 v[4:5], v[4:5], s[18:19]
	v_mul_f64 v[28:29], v[36:37], s[2:3]
	;; [unrolled: 1-line block ×3, first 2 shown]
	v_fmac_f64_e32 v[88:89], s[18:19], v[0:1]
	v_mul_f64 v[90:91], v[86:87], s[2:3]
	v_mul_f64 v[92:93], v[36:37], s[16:17]
	;; [unrolled: 1-line block ×3, first 2 shown]
	v_fmac_f64_e32 v[4:5], s[12:13], v[0:1]
	v_mul_f64 v[0:1], v[86:87], s[22:23]
	v_add_f64 v[6:7], v[68:69], v[32:33]
	v_fmac_f64_e32 v[28:29], s[16:17], v[16:17]
	v_fmac_f64_e32 v[38:39], s[8:9], v[34:35]
	;; [unrolled: 1-line block ×3, first 2 shown]
	v_add_f64 v[8:9], v[72:73], v[84:85]
	v_fmac_f64_e32 v[92:93], s[14:15], v[16:17]
	v_fmac_f64_e32 v[94:95], s[12:13], v[34:35]
	;; [unrolled: 1-line block ×3, first 2 shown]
	v_add_f64 v[10:11], v[74:75], v[28:29]
	v_add_f64 v[14:15], v[78:79], v[38:39]
	;; [unrolled: 1-line block ×8, first 2 shown]
	v_add_f64 v[26:27], v[68:69], -v[32:33]
	v_add_f64 v[32:33], v[74:75], -v[28:29]
	;; [unrolled: 1-line block ×10, first 2 shown]
	ds_write_b128 v30, v[6:9]
	ds_write_b128 v30, v[10:13] offset:2560
	ds_write_b128 v30, v[14:17] offset:5120
	;; [unrolled: 1-line block ×9, first 2 shown]
	s_and_saveexec_b64 s[20:21], vcc
	s_cbranch_execz .LBB0_21
; %bb.20:
	v_accvgpr_read_b32 v34, a52
	v_accvgpr_read_b32 v36, a54
	;; [unrolled: 1-line block ×3, first 2 shown]
	v_mul_f64 v[0:1], v[106:107], v[52:53]
	v_accvgpr_read_b32 v35, a53
	v_mul_f64 v[4:5], v[36:37], v[60:61]
	v_mul_f64 v[8:9], v[126:127], v[224:225]
	;; [unrolled: 1-line block ×3, first 2 shown]
	v_accvgpr_read_b32 v69, a47
	v_fma_f64 v[0:1], v[104:105], v[54:55], -v[0:1]
	v_fma_f64 v[4:5], v[34:35], v[62:63], -v[4:5]
	;; [unrolled: 1-line block ×4, first 2 shown]
	v_mul_f64 v[20:21], v[106:107], v[54:55]
	v_accvgpr_read_b32 v68, a46
	v_add_f64 v[6:7], v[0:1], -v[4:5]
	v_add_f64 v[10:11], v[8:9], -v[12:13]
	v_fmac_f64_e32 v[20:21], v[104:105], v[52:53]
	v_mul_f64 v[32:33], v[36:37], v[62:63]
	v_accvgpr_read_b32 v67, a45
	v_accvgpr_read_b32 v66, a44
	v_mul_f64 v[36:37], v[68:69], v[50:51]
	v_mul_f64 v[38:39], v[138:139], v[58:59]
	;; [unrolled: 1-line block ×4, first 2 shown]
	v_accvgpr_read_b32 v77, a51
	v_add_f64 v[16:17], v[10:11], v[6:7]
	v_add_f64 v[6:7], v[12:13], v[4:5]
	v_fmac_f64_e32 v[36:37], v[66:67], v[48:49]
	v_fmac_f64_e32 v[38:39], v[136:137], v[56:57]
	v_fmac_f64_e32 v[52:53], v[160:161], v[220:221]
	v_fmac_f64_e32 v[54:55], v[100:101], v[212:213]
	v_accvgpr_read_b32 v76, a50
	v_fma_f64 v[24:25], -0.5, v[6:7], v[42:43]
	v_add_f64 v[6:7], v[36:37], -v[38:39]
	v_add_f64 v[10:11], v[52:53], -v[54:55]
	v_accvgpr_read_b32 v75, a49
	v_accvgpr_read_b32 v74, a48
	v_mul_f64 v[62:63], v[76:77], v[46:47]
	v_fmac_f64_e32 v[32:33], v[34:35], v[60:61]
	v_add_f64 v[60:61], v[10:11], v[6:7]
	v_fmac_f64_e32 v[62:63], v[74:75], v[44:45]
	v_add_f64 v[6:7], v[38:39], v[54:55]
	v_fma_f64 v[64:65], -0.5, v[6:7], v[62:63]
	v_mul_f64 v[6:7], v[68:69], v[48:49]
	v_fma_f64 v[48:49], v[66:67], v[50:51], -v[6:7]
	v_mul_f64 v[6:7], v[162:163], v[220:221]
	v_fma_f64 v[50:51], v[160:161], v[222:223], -v[6:7]
	;; [unrolled: 2-line block ×3, first 2 shown]
	v_mul_f64 v[6:7], v[102:103], v[212:213]
	v_mul_f64 v[26:27], v[126:127], v[226:227]
	v_fma_f64 v[58:59], v[100:101], v[214:215], -v[6:7]
	v_fmac_f64_e32 v[26:27], v[124:125], v[224:225]
	v_mul_f64 v[34:35], v[122:123], v[218:219]
	v_add_f64 v[6:7], v[48:49], -v[56:57]
	v_add_f64 v[10:11], v[50:51], -v[58:59]
	;; [unrolled: 1-line block ×3, first 2 shown]
	v_fmac_f64_e32 v[34:35], v[120:121], v[216:217]
	v_add_f64 v[72:73], v[10:11], v[6:7]
	v_add_f64 v[10:11], v[4:5], -v[0:1]
	v_add_f64 v[14:15], v[12:13], -v[8:9]
	v_fma_f64 v[28:29], s[0:1], v[18:19], v[24:25]
	v_add_f64 v[22:23], v[32:33], -v[34:35]
	v_add_f64 v[14:15], v[14:15], v[10:11]
	v_add_f64 v[10:11], v[8:9], v[0:1]
	v_fmac_f64_e32 v[24:25], s[12:13], v[18:19]
	v_fmac_f64_e32 v[28:29], s[2:3], v[22:23]
	v_fma_f64 v[82:83], -0.5, v[10:11], v[42:43]
	v_add_f64 v[10:11], v[38:39], -v[36:37]
	v_add_f64 v[86:87], v[54:55], -v[52:53]
	v_fmac_f64_e32 v[24:25], s[14:15], v[22:23]
	v_fmac_f64_e32 v[28:29], s[8:9], v[16:17]
	v_add_f64 v[86:87], v[86:87], v[10:11]
	v_add_f64 v[10:11], v[52:53], v[36:37]
	v_fmac_f64_e32 v[24:25], s[8:9], v[16:17]
	v_add_f64 v[16:17], v[0:1], v[42:43]
	v_add_f64 v[70:71], v[56:57], -v[58:59]
	v_mul_f64 v[6:7], v[76:77], v[44:45]
	v_fma_f64 v[88:89], -0.5, v[10:11], v[62:63]
	v_add_f64 v[16:17], v[4:5], v[16:17]
	v_add_f64 v[66:67], v[48:49], -v[50:51]
	v_fma_f64 v[44:45], v[74:75], v[46:47], -v[6:7]
	v_fma_f64 v[90:91], s[0:1], v[70:71], v[88:89]
	v_fmac_f64_e32 v[88:89], s[12:13], v[70:71]
	v_add_f64 v[16:17], v[12:13], v[16:17]
	v_fma_f64 v[68:69], s[12:13], v[66:67], v[64:65]
	v_fmac_f64_e32 v[90:91], s[14:15], v[66:67]
	v_fmac_f64_e32 v[88:89], s[2:3], v[66:67]
	;; [unrolled: 1-line block ×3, first 2 shown]
	v_add_f64 v[66:67], v[8:9], v[16:17]
	v_add_f64 v[16:17], v[48:49], v[44:45]
	v_add_f64 v[10:11], v[56:57], -v[48:49]
	v_add_f64 v[92:93], v[58:59], -v[50:51]
	v_add_f64 v[16:17], v[56:57], v[16:17]
	v_add_f64 v[6:7], v[56:57], v[58:59]
	;; [unrolled: 1-line block ×5, first 2 shown]
	v_fma_f64 v[46:47], -0.5, v[6:7], v[44:45]
	v_add_f64 v[74:75], v[36:37], -v[52:53]
	v_fma_f64 v[94:95], -0.5, v[10:11], v[44:45]
	v_add_f64 v[44:45], v[50:51], v[16:17]
	v_add_f64 v[16:17], v[20:21], -v[32:33]
	v_add_f64 v[42:43], v[26:27], -v[34:35]
	v_fma_f64 v[76:77], s[0:1], v[74:75], v[46:47]
	v_add_f64 v[78:79], v[38:39], -v[54:55]
	v_add_f64 v[16:17], v[42:43], v[16:17]
	v_add_f64 v[42:43], v[34:35], v[32:33]
	v_fmac_f64_e32 v[76:77], s[2:3], v[78:79]
	v_fma_f64 v[48:49], -0.5, v[42:43], v[40:41]
	v_add_f64 v[0:1], v[0:1], -v[8:9]
	v_add_f64 v[42:43], v[4:5], -v[12:13]
	;; [unrolled: 1-line block ×4, first 2 shown]
	v_fmac_f64_e32 v[68:69], s[14:15], v[70:71]
	v_fmac_f64_e32 v[76:77], s[8:9], v[72:73]
	;; [unrolled: 1-line block ×3, first 2 shown]
	v_add_f64 v[12:13], v[12:13], v[8:9]
	v_add_f64 v[8:9], v[26:27], v[20:21]
	v_fmac_f64_e32 v[68:69], s[8:9], v[60:61]
	v_mul_f64 v[80:81], v[76:77], s[22:23]
	v_fmac_f64_e32 v[46:47], s[14:15], v[78:79]
	v_mul_f64 v[56:57], v[76:77], s[2:3]
	v_fma_f64 v[58:59], -0.5, v[8:9], v[40:41]
	v_add_f64 v[20:21], v[20:21], v[40:41]
	v_fmac_f64_e32 v[80:81], s[14:15], v[68:69]
	v_fmac_f64_e32 v[64:65], s[2:3], v[70:71]
	;; [unrolled: 1-line block ×4, first 2 shown]
	v_fma_f64 v[68:69], s[0:1], v[42:43], v[58:59]
	v_fmac_f64_e32 v[58:59], s[12:13], v[42:43]
	v_add_f64 v[20:21], v[32:33], v[20:21]
	v_fmac_f64_e32 v[64:65], s[8:9], v[60:61]
	v_mul_f64 v[60:61], v[46:47], s[16:17]
	v_fma_f64 v[50:51], s[12:13], v[0:1], v[48:49]
	v_fmac_f64_e32 v[68:69], s[14:15], v[0:1]
	v_fmac_f64_e32 v[58:59], s[2:3], v[0:1]
	;; [unrolled: 1-line block ×3, first 2 shown]
	v_mul_f64 v[0:1], v[46:47], s[2:3]
	v_add_f64 v[20:21], v[34:35], v[20:21]
	v_fma_f64 v[96:97], s[12:13], v[78:79], v[94:95]
	v_fmac_f64_e32 v[94:95], s[0:1], v[78:79]
	v_fmac_f64_e32 v[60:61], s[14:15], v[64:65]
	;; [unrolled: 1-line block ×3, first 2 shown]
	v_add_f64 v[64:65], v[26:27], v[20:21]
	v_add_f64 v[20:21], v[36:37], v[62:63]
	v_fmac_f64_e32 v[96:97], s[2:3], v[74:75]
	v_fmac_f64_e32 v[94:95], s[14:15], v[74:75]
	v_add_f64 v[20:21], v[38:39], v[20:21]
	v_fma_f64 v[84:85], s[12:13], v[22:23], v[82:83]
	v_fmac_f64_e32 v[96:97], s[8:9], v[92:93]
	v_fmac_f64_e32 v[82:83], s[0:1], v[22:23]
	;; [unrolled: 1-line block ×3, first 2 shown]
	v_add_f64 v[20:21], v[54:55], v[20:21]
	v_fmac_f64_e32 v[84:85], s[2:3], v[18:19]
	v_fmac_f64_e32 v[90:91], s[8:9], v[86:87]
	v_mul_f64 v[98:99], v[96:97], s[18:19]
	v_fmac_f64_e32 v[82:83], s[14:15], v[18:19]
	v_fmac_f64_e32 v[88:89], s[8:9], v[86:87]
	v_mul_f64 v[86:87], v[94:95], s[8:9]
	v_fmac_f64_e32 v[50:51], s[14:15], v[42:43]
	v_mul_f64 v[70:71], v[96:97], s[0:1]
	v_mul_f64 v[72:73], v[94:95], s[0:1]
	v_fmac_f64_e32 v[48:49], s[2:3], v[42:43]
	v_add_f64 v[52:53], v[52:53], v[20:21]
	v_fmac_f64_e32 v[84:85], s[8:9], v[14:15]
	v_fmac_f64_e32 v[98:99], s[12:13], v[90:91]
	;; [unrolled: 1-line block ×4, first 2 shown]
	v_add_f64 v[22:23], v[66:67], -v[44:45]
	v_fmac_f64_e32 v[50:51], s[8:9], v[16:17]
	v_fmac_f64_e32 v[68:69], s[8:9], v[12:13]
	;; [unrolled: 1-line block ×6, first 2 shown]
	v_add_f64 v[46:47], v[66:67], v[44:45]
	v_add_f64 v[44:45], v[64:65], v[52:53]
	v_add_f64 v[6:7], v[28:29], -v[80:81]
	v_add_f64 v[10:11], v[84:85], -v[98:99]
	;; [unrolled: 1-line block ×9, first 2 shown]
	v_add_f64 v[26:27], v[28:29], v[80:81]
	v_add_f64 v[34:35], v[84:85], v[98:99]
	;; [unrolled: 1-line block ×8, first 2 shown]
	ds_write_b128 v30, v[44:47] offset:1600
	ds_write_b128 v30, v[40:43] offset:4160
	;; [unrolled: 1-line block ×10, first 2 shown]
.LBB0_21:
	s_or_b64 exec, exec, s[20:21]
	s_waitcnt lgkmcnt(0)
	s_barrier
	ds_read_b128 v[4:7], v30
	v_mad_u64_u32 v[16:17], s[0:1], s6, v254, 0
	v_mov_b32_e32 v8, v17
	v_accvgpr_read_b32 v18, a30
	v_mad_u64_u32 v[8:9], s[0:1], s7, v254, v[8:9]
	v_accvgpr_read_b32 v20, a32
	v_accvgpr_read_b32 v21, a33
	v_mov_b32_e32 v17, v8
	ds_read_b128 v[8:11], v30 offset:2560
	v_accvgpr_read_b32 v19, a31
	s_waitcnt lgkmcnt(1)
	v_mul_f64 v[12:13], v[20:21], v[6:7]
	v_fmac_f64_e32 v[12:13], v[18:19], v[4:5]
	s_mov_b32 s0, 0x47ae147b
	v_mul_f64 v[4:5], v[20:21], v[4:5]
	s_mov_b32 s1, 0x3f447ae1
	v_fma_f64 v[4:5], v[18:19], v[6:7], -v[4:5]
	v_mul_f64 v[14:15], v[4:5], s[0:1]
	v_mad_u64_u32 v[4:5], s[2:3], s4, v2, 0
	v_mov_b32_e32 v6, v5
	v_mov_b32_e32 v0, s10
	;; [unrolled: 1-line block ×3, first 2 shown]
	v_mad_u64_u32 v[2:3], s[2:3], s5, v2, v[6:7]
	v_mov_b32_e32 v5, v2
	v_lshl_add_u64 v[0:1], v[16:17], 4, v[0:1]
	v_mul_f64 v[12:13], v[12:13], s[0:1]
	v_lshl_add_u64 v[16:17], v[4:5], 4, v[0:1]
	global_store_dwordx4 v[16:17], v[12:15], off
	s_mul_i32 s2, s5, 0xa0
	s_mul_hi_u32 s3, s4, 0xa0
	v_accvgpr_read_b32 v15, a9
	v_accvgpr_read_b32 v14, a8
	;; [unrolled: 1-line block ×4, first 2 shown]
	s_waitcnt lgkmcnt(0)
	v_mul_f64 v[2:3], v[14:15], v[10:11]
	v_fmac_f64_e32 v[2:3], v[12:13], v[8:9]
	v_mul_f64 v[4:5], v[14:15], v[8:9]
	ds_read_b128 v[6:9], v30 offset:5120
	s_add_i32 s3, s3, s2
	s_mul_i32 s2, s4, 0xa0
	s_lshl_b64 s[2:3], s[2:3], 4
	v_fma_f64 v[4:5], v[12:13], v[10:11], -v[4:5]
	v_lshl_add_u64 v[14:15], v[16:17], 0, s[2:3]
	v_accvgpr_read_b32 v16, a26
	v_mul_f64 v[2:3], v[2:3], s[0:1]
	v_mul_f64 v[4:5], v[4:5], s[0:1]
	v_accvgpr_read_b32 v18, a28
	v_accvgpr_read_b32 v19, a29
	global_store_dwordx4 v[14:15], v[2:5], off
	ds_read_b128 v[2:5], v30 offset:7680
	v_accvgpr_read_b32 v17, a27
	s_waitcnt lgkmcnt(1)
	v_mul_f64 v[10:11], v[18:19], v[8:9]
	v_fmac_f64_e32 v[10:11], v[16:17], v[6:7]
	v_mul_f64 v[6:7], v[18:19], v[6:7]
	v_fma_f64 v[6:7], v[16:17], v[8:9], -v[6:7]
	v_mul_f64 v[10:11], v[10:11], s[0:1]
	v_mul_f64 v[12:13], v[6:7], s[0:1]
	v_lshl_add_u64 v[14:15], v[14:15], 0, s[2:3]
	global_store_dwordx4 v[14:15], v[10:13], off
	v_accvgpr_read_b32 v8, a10
	v_accvgpr_read_b32 v9, a11
	;; [unrolled: 1-line block ×4, first 2 shown]
	s_waitcnt lgkmcnt(0)
	v_mul_f64 v[6:7], v[10:11], v[4:5]
	v_fmac_f64_e32 v[6:7], v[8:9], v[2:3]
	v_mul_f64 v[2:3], v[10:11], v[2:3]
	v_fma_f64 v[8:9], v[8:9], v[4:5], -v[2:3]
	ds_read_b128 v[2:5], v30 offset:10240
	v_accvgpr_read_b32 v16, a38
	v_mul_f64 v[6:7], v[6:7], s[0:1]
	v_mul_f64 v[8:9], v[8:9], s[0:1]
	v_lshl_add_u64 v[14:15], v[14:15], 0, s[2:3]
	v_accvgpr_read_b32 v18, a40
	v_accvgpr_read_b32 v19, a41
	global_store_dwordx4 v[14:15], v[6:9], off
	ds_read_b128 v[6:9], v30 offset:12800
	v_accvgpr_read_b32 v17, a39
	s_waitcnt lgkmcnt(1)
	v_mul_f64 v[10:11], v[18:19], v[4:5]
	v_fmac_f64_e32 v[10:11], v[16:17], v[2:3]
	v_mul_f64 v[2:3], v[18:19], v[2:3]
	v_fma_f64 v[2:3], v[16:17], v[4:5], -v[2:3]
	v_accvgpr_read_b32 v5, a0
	v_mul_f64 v[12:13], v[2:3], s[0:1]
	v_mad_u64_u32 v[2:3], s[6:7], s4, v5, 0
	v_mov_b32_e32 v4, v3
	v_mad_u64_u32 v[4:5], s[6:7], s5, v5, v[4:5]
	v_mov_b32_e32 v3, v4
	v_mul_f64 v[10:11], v[10:11], s[0:1]
	v_lshl_add_u64 v[2:3], v[2:3], 4, v[0:1]
	global_store_dwordx4 v[2:3], v[10:13], off
	v_mov_b32_e32 v16, 0x1400
	v_mad_u64_u32 v[14:15], s[6:7], s4, v16, v[14:15]
	v_accvgpr_read_b32 v10, a22
	v_accvgpr_read_b32 v12, a24
	;; [unrolled: 1-line block ×4, first 2 shown]
	s_waitcnt lgkmcnt(0)
	v_mul_f64 v[2:3], v[12:13], v[8:9]
	v_mul_f64 v[4:5], v[12:13], v[6:7]
	v_fmac_f64_e32 v[2:3], v[10:11], v[6:7]
	v_fma_f64 v[4:5], v[10:11], v[8:9], -v[4:5]
	ds_read_b128 v[6:9], v30 offset:15360
	s_mul_i32 s8, s5, 0x1400
	v_accvgpr_read_b32 v21, a5
	v_mul_f64 v[2:3], v[2:3], s[0:1]
	v_mul_f64 v[4:5], v[4:5], s[0:1]
	v_add_u32_e32 v15, s8, v15
	v_accvgpr_read_b32 v20, a4
	global_store_dwordx4 v[14:15], v[2:5], off
	ds_read_b128 v[2:5], v30 offset:17920
	v_accvgpr_read_b32 v19, a3
	v_accvgpr_read_b32 v18, a2
	s_waitcnt lgkmcnt(1)
	v_mul_f64 v[10:11], v[20:21], v[8:9]
	v_fmac_f64_e32 v[10:11], v[18:19], v[6:7]
	v_mul_f64 v[6:7], v[20:21], v[6:7]
	v_fma_f64 v[6:7], v[18:19], v[8:9], -v[6:7]
	v_mul_f64 v[10:11], v[10:11], s[0:1]
	v_mul_f64 v[12:13], v[6:7], s[0:1]
	v_lshl_add_u64 v[14:15], v[14:15], 0, s[2:3]
	global_store_dwordx4 v[14:15], v[10:13], off
	v_accvgpr_read_b32 v8, a18
	v_accvgpr_read_b32 v9, a19
	;; [unrolled: 1-line block ×4, first 2 shown]
	s_waitcnt lgkmcnt(0)
	v_mul_f64 v[6:7], v[10:11], v[4:5]
	v_fmac_f64_e32 v[6:7], v[8:9], v[2:3]
	v_mul_f64 v[2:3], v[10:11], v[2:3]
	v_fma_f64 v[8:9], v[8:9], v[4:5], -v[2:3]
	ds_read_b128 v[2:5], v30 offset:20480
	v_accvgpr_read_b32 v21, a17
	v_mul_f64 v[6:7], v[6:7], s[0:1]
	v_mul_f64 v[8:9], v[8:9], s[0:1]
	v_lshl_add_u64 v[14:15], v[14:15], 0, s[2:3]
	v_accvgpr_read_b32 v20, a16
	global_store_dwordx4 v[14:15], v[6:9], off
	ds_read_b128 v[6:9], v30 offset:23040
	v_accvgpr_read_b32 v19, a15
	v_accvgpr_read_b32 v18, a14
	s_waitcnt lgkmcnt(1)
	v_mul_f64 v[10:11], v[20:21], v[4:5]
	v_fmac_f64_e32 v[10:11], v[18:19], v[2:3]
	v_mul_f64 v[2:3], v[20:21], v[2:3]
	v_fma_f64 v[2:3], v[18:19], v[4:5], -v[2:3]
	v_accvgpr_read_b32 v5, a1
	v_mul_f64 v[12:13], v[2:3], s[0:1]
	v_mad_u64_u32 v[2:3], s[6:7], s4, v5, 0
	v_mov_b32_e32 v4, v3
	v_mad_u64_u32 v[4:5], s[6:7], s5, v5, v[4:5]
	v_mov_b32_e32 v3, v4
	v_mul_f64 v[10:11], v[10:11], s[0:1]
	v_lshl_add_u64 v[0:1], v[2:3], 4, v[0:1]
	global_store_dwordx4 v[0:1], v[10:13], off
	s_nop 1
	v_accvgpr_read_b32 v10, a34
	v_accvgpr_read_b32 v12, a36
	;; [unrolled: 1-line block ×4, first 2 shown]
	s_waitcnt lgkmcnt(0)
	v_mul_f64 v[0:1], v[12:13], v[8:9]
	v_fmac_f64_e32 v[0:1], v[10:11], v[6:7]
	v_mul_f64 v[2:3], v[0:1], s[0:1]
	v_mul_f64 v[0:1], v[12:13], v[6:7]
	v_fma_f64 v[0:1], v[10:11], v[8:9], -v[0:1]
	v_mul_f64 v[4:5], v[0:1], s[0:1]
	v_mad_u64_u32 v[0:1], s[6:7], s4, v16, v[14:15]
	v_add_u32_e32 v1, s8, v1
	global_store_dwordx4 v[0:1], v[2:5], off
	s_and_b64 exec, exec, vcc
	s_cbranch_execz .LBB0_23
; %bb.22:
	global_load_dwordx4 v[2:5], v[252:253], off offset:1600
	ds_read_b128 v[6:9], v30 offset:1600
	ds_read_b128 v[10:13], v30 offset:4160
	v_mov_b32_e32 v14, 0xffffac40
	s_mulk_i32 s5, 0xac40
	v_mad_u64_u32 v[14:15], s[6:7], s4, v14, v[0:1]
	s_movk_i32 s8, 0x1000
	s_sub_i32 s4, s5, s4
	v_add_co_u32_e32 v16, vcc, s8, v252
	v_add_u32_e32 v15, s4, v15
	s_nop 0
	v_addc_co_u32_e32 v17, vcc, 0, v253, vcc
	s_movk_i32 s4, 0x2000
	s_waitcnt vmcnt(0) lgkmcnt(1)
	v_mul_f64 v[0:1], v[8:9], v[4:5]
	v_mul_f64 v[4:5], v[6:7], v[4:5]
	v_fmac_f64_e32 v[0:1], v[6:7], v[2:3]
	v_fma_f64 v[2:3], v[2:3], v[8:9], -v[4:5]
	v_mul_f64 v[0:1], v[0:1], s[0:1]
	v_mul_f64 v[2:3], v[2:3], s[0:1]
	global_store_dwordx4 v[14:15], v[0:3], off
	global_load_dwordx4 v[0:3], v[16:17], off offset:64
	v_lshl_add_u64 v[14:15], v[14:15], 0, s[2:3]
	s_waitcnt vmcnt(0) lgkmcnt(0)
	v_mul_f64 v[4:5], v[12:13], v[2:3]
	v_mul_f64 v[2:3], v[10:11], v[2:3]
	v_fmac_f64_e32 v[4:5], v[10:11], v[0:1]
	v_fma_f64 v[2:3], v[0:1], v[12:13], -v[2:3]
	v_mul_f64 v[0:1], v[4:5], s[0:1]
	v_mul_f64 v[2:3], v[2:3], s[0:1]
	global_store_dwordx4 v[14:15], v[0:3], off
	global_load_dwordx4 v[0:3], v[16:17], off offset:2624
	ds_read_b128 v[4:7], v30 offset:6720
	ds_read_b128 v[8:11], v30 offset:9280
	v_add_co_u32_e32 v12, vcc, s4, v252
	v_lshl_add_u64 v[14:15], v[14:15], 0, s[2:3]
	s_nop 0
	v_addc_co_u32_e32 v13, vcc, 0, v253, vcc
	s_movk_i32 s4, 0x3000
	s_waitcnt vmcnt(0) lgkmcnt(1)
	v_mul_f64 v[16:17], v[6:7], v[2:3]
	v_mul_f64 v[2:3], v[4:5], v[2:3]
	v_fmac_f64_e32 v[16:17], v[4:5], v[0:1]
	v_fma_f64 v[2:3], v[0:1], v[6:7], -v[2:3]
	v_mul_f64 v[0:1], v[16:17], s[0:1]
	v_mul_f64 v[2:3], v[2:3], s[0:1]
	global_store_dwordx4 v[14:15], v[0:3], off
	global_load_dwordx4 v[0:3], v[12:13], off offset:1088
	v_lshl_add_u64 v[14:15], v[14:15], 0, s[2:3]
	s_waitcnt vmcnt(0) lgkmcnt(0)
	v_mul_f64 v[4:5], v[10:11], v[2:3]
	v_mul_f64 v[2:3], v[8:9], v[2:3]
	v_fmac_f64_e32 v[4:5], v[8:9], v[0:1]
	v_fma_f64 v[2:3], v[0:1], v[10:11], -v[2:3]
	v_mul_f64 v[0:1], v[4:5], s[0:1]
	v_mul_f64 v[2:3], v[2:3], s[0:1]
	global_store_dwordx4 v[14:15], v[0:3], off
	global_load_dwordx4 v[0:3], v[12:13], off offset:3648
	ds_read_b128 v[4:7], v30 offset:11840
	ds_read_b128 v[8:11], v30 offset:14400
	v_add_co_u32_e32 v12, vcc, s4, v252
	v_lshl_add_u64 v[14:15], v[14:15], 0, s[2:3]
	s_nop 0
	v_addc_co_u32_e32 v13, vcc, 0, v253, vcc
	s_movk_i32 s4, 0x4000
	s_waitcnt vmcnt(0) lgkmcnt(1)
	v_mul_f64 v[16:17], v[6:7], v[2:3]
	v_mul_f64 v[2:3], v[4:5], v[2:3]
	v_fmac_f64_e32 v[16:17], v[4:5], v[0:1]
	v_fma_f64 v[2:3], v[0:1], v[6:7], -v[2:3]
	v_mul_f64 v[0:1], v[16:17], s[0:1]
	v_mul_f64 v[2:3], v[2:3], s[0:1]
	global_store_dwordx4 v[14:15], v[0:3], off
	global_load_dwordx4 v[0:3], v[12:13], off offset:2112
	v_add_co_u32_e32 v12, vcc, s4, v252
	v_lshl_add_u64 v[14:15], v[14:15], 0, s[2:3]
	s_nop 0
	v_addc_co_u32_e32 v13, vcc, 0, v253, vcc
	s_movk_i32 s4, 0x5000
	s_waitcnt vmcnt(0) lgkmcnt(0)
	v_mul_f64 v[4:5], v[10:11], v[2:3]
	v_mul_f64 v[2:3], v[8:9], v[2:3]
	v_fmac_f64_e32 v[4:5], v[8:9], v[0:1]
	v_fma_f64 v[2:3], v[0:1], v[10:11], -v[2:3]
	v_mul_f64 v[0:1], v[4:5], s[0:1]
	v_mul_f64 v[2:3], v[2:3], s[0:1]
	global_store_dwordx4 v[14:15], v[0:3], off
	global_load_dwordx4 v[0:3], v[12:13], off offset:576
	ds_read_b128 v[4:7], v30 offset:16960
	ds_read_b128 v[8:11], v30 offset:19520
	v_lshl_add_u64 v[14:15], v[14:15], 0, s[2:3]
	s_waitcnt vmcnt(0) lgkmcnt(1)
	v_mul_f64 v[16:17], v[6:7], v[2:3]
	v_mul_f64 v[2:3], v[4:5], v[2:3]
	v_fmac_f64_e32 v[16:17], v[4:5], v[0:1]
	v_fma_f64 v[2:3], v[0:1], v[6:7], -v[2:3]
	v_mul_f64 v[0:1], v[16:17], s[0:1]
	v_mul_f64 v[2:3], v[2:3], s[0:1]
	global_store_dwordx4 v[14:15], v[0:3], off
	global_load_dwordx4 v[0:3], v[12:13], off offset:3136
	v_add_co_u32_e32 v4, vcc, s4, v252
	v_lshl_add_u64 v[12:13], v[14:15], 0, s[2:3]
	s_nop 0
	v_addc_co_u32_e32 v5, vcc, 0, v253, vcc
	s_movk_i32 s4, 0x6000
	v_add_co_u32_e32 v14, vcc, s4, v252
	s_waitcnt vmcnt(0) lgkmcnt(0)
	v_mul_f64 v[6:7], v[10:11], v[2:3]
	v_mul_f64 v[2:3], v[8:9], v[2:3]
	v_fmac_f64_e32 v[6:7], v[8:9], v[0:1]
	v_fma_f64 v[2:3], v[0:1], v[10:11], -v[2:3]
	v_mul_f64 v[0:1], v[6:7], s[0:1]
	v_mul_f64 v[2:3], v[2:3], s[0:1]
	global_store_dwordx4 v[12:13], v[0:3], off
	global_load_dwordx4 v[0:3], v[4:5], off offset:1600
	ds_read_b128 v[4:7], v30 offset:22080
	ds_read_b128 v[8:11], v30 offset:24640
	v_lshl_add_u64 v[12:13], v[12:13], 0, s[2:3]
	v_addc_co_u32_e32 v15, vcc, 0, v253, vcc
	s_waitcnt vmcnt(0) lgkmcnt(1)
	v_mul_f64 v[16:17], v[6:7], v[2:3]
	v_mul_f64 v[2:3], v[4:5], v[2:3]
	v_fmac_f64_e32 v[16:17], v[4:5], v[0:1]
	v_fma_f64 v[2:3], v[0:1], v[6:7], -v[2:3]
	v_mul_f64 v[0:1], v[16:17], s[0:1]
	v_mul_f64 v[2:3], v[2:3], s[0:1]
	global_store_dwordx4 v[12:13], v[0:3], off
	global_load_dwordx4 v[0:3], v[14:15], off offset:64
	s_waitcnt vmcnt(0) lgkmcnt(0)
	v_mul_f64 v[4:5], v[10:11], v[2:3]
	v_mul_f64 v[2:3], v[8:9], v[2:3]
	v_fmac_f64_e32 v[4:5], v[8:9], v[0:1]
	v_fma_f64 v[2:3], v[0:1], v[10:11], -v[2:3]
	v_mul_f64 v[0:1], v[4:5], s[0:1]
	v_mul_f64 v[2:3], v[2:3], s[0:1]
	v_lshl_add_u64 v[4:5], v[12:13], 0, s[2:3]
	global_store_dwordx4 v[4:5], v[0:3], off
.LBB0_23:
	s_endpgm
	.section	.rodata,"a",@progbits
	.p2align	6, 0x0
	.amdhsa_kernel bluestein_single_fwd_len1600_dim1_dp_op_CI_CI
		.amdhsa_group_segment_fixed_size 51200
		.amdhsa_private_segment_fixed_size 0
		.amdhsa_kernarg_size 104
		.amdhsa_user_sgpr_count 2
		.amdhsa_user_sgpr_dispatch_ptr 0
		.amdhsa_user_sgpr_queue_ptr 0
		.amdhsa_user_sgpr_kernarg_segment_ptr 1
		.amdhsa_user_sgpr_dispatch_id 0
		.amdhsa_user_sgpr_kernarg_preload_length 0
		.amdhsa_user_sgpr_kernarg_preload_offset 0
		.amdhsa_user_sgpr_private_segment_size 0
		.amdhsa_uses_dynamic_stack 0
		.amdhsa_enable_private_segment 0
		.amdhsa_system_sgpr_workgroup_id_x 1
		.amdhsa_system_sgpr_workgroup_id_y 0
		.amdhsa_system_sgpr_workgroup_id_z 0
		.amdhsa_system_sgpr_workgroup_info 0
		.amdhsa_system_vgpr_workitem_id 0
		.amdhsa_next_free_vgpr 312
		.amdhsa_next_free_sgpr 24
		.amdhsa_accum_offset 256
		.amdhsa_reserve_vcc 1
		.amdhsa_float_round_mode_32 0
		.amdhsa_float_round_mode_16_64 0
		.amdhsa_float_denorm_mode_32 3
		.amdhsa_float_denorm_mode_16_64 3
		.amdhsa_dx10_clamp 1
		.amdhsa_ieee_mode 1
		.amdhsa_fp16_overflow 0
		.amdhsa_tg_split 0
		.amdhsa_exception_fp_ieee_invalid_op 0
		.amdhsa_exception_fp_denorm_src 0
		.amdhsa_exception_fp_ieee_div_zero 0
		.amdhsa_exception_fp_ieee_overflow 0
		.amdhsa_exception_fp_ieee_underflow 0
		.amdhsa_exception_fp_ieee_inexact 0
		.amdhsa_exception_int_div_zero 0
	.end_amdhsa_kernel
	.text
.Lfunc_end0:
	.size	bluestein_single_fwd_len1600_dim1_dp_op_CI_CI, .Lfunc_end0-bluestein_single_fwd_len1600_dim1_dp_op_CI_CI
                                        ; -- End function
	.section	.AMDGPU.csdata,"",@progbits
; Kernel info:
; codeLenInByte = 20916
; NumSgprs: 30
; NumVgprs: 256
; NumAgprs: 56
; TotalNumVgprs: 312
; ScratchSize: 0
; MemoryBound: 0
; FloatMode: 240
; IeeeMode: 1
; LDSByteSize: 51200 bytes/workgroup (compile time only)
; SGPRBlocks: 3
; VGPRBlocks: 38
; NumSGPRsForWavesPerEU: 30
; NumVGPRsForWavesPerEU: 312
; AccumOffset: 256
; Occupancy: 1
; WaveLimiterHint : 1
; COMPUTE_PGM_RSRC2:SCRATCH_EN: 0
; COMPUTE_PGM_RSRC2:USER_SGPR: 2
; COMPUTE_PGM_RSRC2:TRAP_HANDLER: 0
; COMPUTE_PGM_RSRC2:TGID_X_EN: 1
; COMPUTE_PGM_RSRC2:TGID_Y_EN: 0
; COMPUTE_PGM_RSRC2:TGID_Z_EN: 0
; COMPUTE_PGM_RSRC2:TIDIG_COMP_CNT: 0
; COMPUTE_PGM_RSRC3_GFX90A:ACCUM_OFFSET: 63
; COMPUTE_PGM_RSRC3_GFX90A:TG_SPLIT: 0
	.text
	.p2alignl 6, 3212836864
	.fill 256, 4, 3212836864
	.type	__hip_cuid_e9b7fa752050a1f3,@object ; @__hip_cuid_e9b7fa752050a1f3
	.section	.bss,"aw",@nobits
	.globl	__hip_cuid_e9b7fa752050a1f3
__hip_cuid_e9b7fa752050a1f3:
	.byte	0                               ; 0x0
	.size	__hip_cuid_e9b7fa752050a1f3, 1

	.ident	"AMD clang version 19.0.0git (https://github.com/RadeonOpenCompute/llvm-project roc-6.4.0 25133 c7fe45cf4b819c5991fe208aaa96edf142730f1d)"
	.section	".note.GNU-stack","",@progbits
	.addrsig
	.addrsig_sym __hip_cuid_e9b7fa752050a1f3
	.amdgpu_metadata
---
amdhsa.kernels:
  - .agpr_count:     56
    .args:
      - .actual_access:  read_only
        .address_space:  global
        .offset:         0
        .size:           8
        .value_kind:     global_buffer
      - .actual_access:  read_only
        .address_space:  global
        .offset:         8
        .size:           8
        .value_kind:     global_buffer
      - .actual_access:  read_only
        .address_space:  global
        .offset:         16
        .size:           8
        .value_kind:     global_buffer
      - .actual_access:  read_only
        .address_space:  global
        .offset:         24
        .size:           8
        .value_kind:     global_buffer
      - .actual_access:  read_only
        .address_space:  global
        .offset:         32
        .size:           8
        .value_kind:     global_buffer
      - .offset:         40
        .size:           8
        .value_kind:     by_value
      - .address_space:  global
        .offset:         48
        .size:           8
        .value_kind:     global_buffer
      - .address_space:  global
        .offset:         56
        .size:           8
        .value_kind:     global_buffer
      - .address_space:  global
        .offset:         64
        .size:           8
        .value_kind:     global_buffer
      - .address_space:  global
        .offset:         72
        .size:           8
        .value_kind:     global_buffer
      - .offset:         80
        .size:           4
        .value_kind:     by_value
      - .address_space:  global
        .offset:         88
        .size:           8
        .value_kind:     global_buffer
      - .address_space:  global
        .offset:         96
        .size:           8
        .value_kind:     global_buffer
    .group_segment_fixed_size: 51200
    .kernarg_segment_align: 8
    .kernarg_segment_size: 104
    .language:       OpenCL C
    .language_version:
      - 2
      - 0
    .max_flat_workgroup_size: 200
    .name:           bluestein_single_fwd_len1600_dim1_dp_op_CI_CI
    .private_segment_fixed_size: 0
    .sgpr_count:     30
    .sgpr_spill_count: 0
    .symbol:         bluestein_single_fwd_len1600_dim1_dp_op_CI_CI.kd
    .uniform_work_group_size: 1
    .uses_dynamic_stack: false
    .vgpr_count:     312
    .vgpr_spill_count: 0
    .wavefront_size: 64
amdhsa.target:   amdgcn-amd-amdhsa--gfx950
amdhsa.version:
  - 1
  - 2
...

	.end_amdgpu_metadata
